;; amdgpu-corpus repo=ROCm/rocFFT kind=compiled arch=gfx1201 opt=O3
	.text
	.amdgcn_target "amdgcn-amd-amdhsa--gfx1201"
	.amdhsa_code_object_version 6
	.protected	fft_rtc_fwd_len1428_factors_17_2_7_6_wgs_119_tpt_119_halfLds_sp_ip_CI_unitstride_sbrr_C2R_dirReg ; -- Begin function fft_rtc_fwd_len1428_factors_17_2_7_6_wgs_119_tpt_119_halfLds_sp_ip_CI_unitstride_sbrr_C2R_dirReg
	.globl	fft_rtc_fwd_len1428_factors_17_2_7_6_wgs_119_tpt_119_halfLds_sp_ip_CI_unitstride_sbrr_C2R_dirReg
	.p2align	8
	.type	fft_rtc_fwd_len1428_factors_17_2_7_6_wgs_119_tpt_119_halfLds_sp_ip_CI_unitstride_sbrr_C2R_dirReg,@function
fft_rtc_fwd_len1428_factors_17_2_7_6_wgs_119_tpt_119_halfLds_sp_ip_CI_unitstride_sbrr_C2R_dirReg: ; @fft_rtc_fwd_len1428_factors_17_2_7_6_wgs_119_tpt_119_halfLds_sp_ip_CI_unitstride_sbrr_C2R_dirReg
; %bb.0:
	s_clause 0x2
	s_load_b128 s[4:7], s[0:1], 0x0
	s_load_b64 s[8:9], s[0:1], 0x50
	s_load_b64 s[10:11], s[0:1], 0x18
	v_mul_u32_u24_e32 v1, 0x227, v0
	v_mov_b32_e32 v3, 0
	s_delay_alu instid0(VALU_DEP_2) | instskip(NEXT) | instid1(VALU_DEP_1)
	v_lshrrev_b32_e32 v1, 16, v1
	v_add_nc_u32_e32 v5, ttmp9, v1
	v_mov_b32_e32 v1, 0
	v_mov_b32_e32 v2, 0
	;; [unrolled: 1-line block ×3, first 2 shown]
	s_wait_kmcnt 0x0
	v_cmp_lt_u64_e64 s2, s[6:7], 2
	s_delay_alu instid0(VALU_DEP_1)
	s_and_b32 vcc_lo, exec_lo, s2
	s_cbranch_vccnz .LBB0_8
; %bb.1:
	s_load_b64 s[2:3], s[0:1], 0x10
	v_mov_b32_e32 v1, 0
	v_mov_b32_e32 v2, 0
	s_add_nc_u64 s[12:13], s[10:11], 8
	s_mov_b64 s[14:15], 1
	s_wait_kmcnt 0x0
	s_add_nc_u64 s[16:17], s[2:3], 8
	s_mov_b32 s3, 0
.LBB0_2:                                ; =>This Inner Loop Header: Depth=1
	s_load_b64 s[18:19], s[16:17], 0x0
                                        ; implicit-def: $vgpr7_vgpr8
	s_mov_b32 s2, exec_lo
	s_wait_kmcnt 0x0
	v_or_b32_e32 v4, s19, v6
	s_delay_alu instid0(VALU_DEP_1)
	v_cmpx_ne_u64_e32 0, v[3:4]
	s_wait_alu 0xfffe
	s_xor_b32 s20, exec_lo, s2
	s_cbranch_execz .LBB0_4
; %bb.3:                                ;   in Loop: Header=BB0_2 Depth=1
	s_cvt_f32_u32 s2, s18
	s_cvt_f32_u32 s21, s19
	s_sub_nc_u64 s[24:25], 0, s[18:19]
	s_wait_alu 0xfffe
	s_delay_alu instid0(SALU_CYCLE_1) | instskip(SKIP_1) | instid1(SALU_CYCLE_2)
	s_fmamk_f32 s2, s21, 0x4f800000, s2
	s_wait_alu 0xfffe
	v_s_rcp_f32 s2, s2
	s_delay_alu instid0(TRANS32_DEP_1) | instskip(SKIP_1) | instid1(SALU_CYCLE_2)
	s_mul_f32 s2, s2, 0x5f7ffffc
	s_wait_alu 0xfffe
	s_mul_f32 s21, s2, 0x2f800000
	s_wait_alu 0xfffe
	s_delay_alu instid0(SALU_CYCLE_2) | instskip(SKIP_1) | instid1(SALU_CYCLE_2)
	s_trunc_f32 s21, s21
	s_wait_alu 0xfffe
	s_fmamk_f32 s2, s21, 0xcf800000, s2
	s_cvt_u32_f32 s23, s21
	s_wait_alu 0xfffe
	s_delay_alu instid0(SALU_CYCLE_1) | instskip(SKIP_1) | instid1(SALU_CYCLE_2)
	s_cvt_u32_f32 s22, s2
	s_wait_alu 0xfffe
	s_mul_u64 s[26:27], s[24:25], s[22:23]
	s_wait_alu 0xfffe
	s_mul_hi_u32 s29, s22, s27
	s_mul_i32 s28, s22, s27
	s_mul_hi_u32 s2, s22, s26
	s_mul_i32 s30, s23, s26
	s_wait_alu 0xfffe
	s_add_nc_u64 s[28:29], s[2:3], s[28:29]
	s_mul_hi_u32 s21, s23, s26
	s_mul_hi_u32 s31, s23, s27
	s_add_co_u32 s2, s28, s30
	s_wait_alu 0xfffe
	s_add_co_ci_u32 s2, s29, s21
	s_mul_i32 s26, s23, s27
	s_add_co_ci_u32 s27, s31, 0
	s_wait_alu 0xfffe
	s_add_nc_u64 s[26:27], s[2:3], s[26:27]
	s_wait_alu 0xfffe
	v_add_co_u32 v4, s2, s22, s26
	s_delay_alu instid0(VALU_DEP_1) | instskip(SKIP_1) | instid1(VALU_DEP_1)
	s_cmp_lg_u32 s2, 0
	s_add_co_ci_u32 s23, s23, s27
	v_readfirstlane_b32 s22, v4
	s_wait_alu 0xfffe
	s_delay_alu instid0(VALU_DEP_1)
	s_mul_u64 s[24:25], s[24:25], s[22:23]
	s_wait_alu 0xfffe
	s_mul_hi_u32 s27, s22, s25
	s_mul_i32 s26, s22, s25
	s_mul_hi_u32 s2, s22, s24
	s_mul_i32 s28, s23, s24
	s_wait_alu 0xfffe
	s_add_nc_u64 s[26:27], s[2:3], s[26:27]
	s_mul_hi_u32 s21, s23, s24
	s_mul_hi_u32 s22, s23, s25
	s_wait_alu 0xfffe
	s_add_co_u32 s2, s26, s28
	s_add_co_ci_u32 s2, s27, s21
	s_mul_i32 s24, s23, s25
	s_add_co_ci_u32 s25, s22, 0
	s_wait_alu 0xfffe
	s_add_nc_u64 s[24:25], s[2:3], s[24:25]
	s_wait_alu 0xfffe
	v_add_co_u32 v4, s2, v4, s24
	s_delay_alu instid0(VALU_DEP_1) | instskip(SKIP_1) | instid1(VALU_DEP_1)
	s_cmp_lg_u32 s2, 0
	s_add_co_ci_u32 s2, s23, s25
	v_mul_hi_u32 v13, v5, v4
	s_wait_alu 0xfffe
	v_mad_co_u64_u32 v[7:8], null, v5, s2, 0
	v_mad_co_u64_u32 v[9:10], null, v6, v4, 0
	;; [unrolled: 1-line block ×3, first 2 shown]
	s_delay_alu instid0(VALU_DEP_3) | instskip(SKIP_1) | instid1(VALU_DEP_4)
	v_add_co_u32 v4, vcc_lo, v13, v7
	s_wait_alu 0xfffd
	v_add_co_ci_u32_e32 v7, vcc_lo, 0, v8, vcc_lo
	s_delay_alu instid0(VALU_DEP_2) | instskip(SKIP_1) | instid1(VALU_DEP_2)
	v_add_co_u32 v4, vcc_lo, v4, v9
	s_wait_alu 0xfffd
	v_add_co_ci_u32_e32 v4, vcc_lo, v7, v10, vcc_lo
	s_wait_alu 0xfffd
	v_add_co_ci_u32_e32 v7, vcc_lo, 0, v12, vcc_lo
	s_delay_alu instid0(VALU_DEP_2) | instskip(SKIP_1) | instid1(VALU_DEP_2)
	v_add_co_u32 v4, vcc_lo, v4, v11
	s_wait_alu 0xfffd
	v_add_co_ci_u32_e32 v9, vcc_lo, 0, v7, vcc_lo
	s_delay_alu instid0(VALU_DEP_2) | instskip(SKIP_1) | instid1(VALU_DEP_3)
	v_mul_lo_u32 v10, s19, v4
	v_mad_co_u64_u32 v[7:8], null, s18, v4, 0
	v_mul_lo_u32 v11, s18, v9
	s_delay_alu instid0(VALU_DEP_2) | instskip(NEXT) | instid1(VALU_DEP_2)
	v_sub_co_u32 v7, vcc_lo, v5, v7
	v_add3_u32 v8, v8, v11, v10
	s_delay_alu instid0(VALU_DEP_1) | instskip(SKIP_1) | instid1(VALU_DEP_1)
	v_sub_nc_u32_e32 v10, v6, v8
	s_wait_alu 0xfffd
	v_subrev_co_ci_u32_e64 v10, s2, s19, v10, vcc_lo
	v_add_co_u32 v11, s2, v4, 2
	s_wait_alu 0xf1ff
	v_add_co_ci_u32_e64 v12, s2, 0, v9, s2
	v_sub_co_u32 v13, s2, v7, s18
	v_sub_co_ci_u32_e32 v8, vcc_lo, v6, v8, vcc_lo
	s_wait_alu 0xf1ff
	v_subrev_co_ci_u32_e64 v10, s2, 0, v10, s2
	s_delay_alu instid0(VALU_DEP_3) | instskip(NEXT) | instid1(VALU_DEP_3)
	v_cmp_le_u32_e32 vcc_lo, s18, v13
	v_cmp_eq_u32_e64 s2, s19, v8
	s_wait_alu 0xfffd
	v_cndmask_b32_e64 v13, 0, -1, vcc_lo
	v_cmp_le_u32_e32 vcc_lo, s19, v10
	s_wait_alu 0xfffd
	v_cndmask_b32_e64 v14, 0, -1, vcc_lo
	v_cmp_le_u32_e32 vcc_lo, s18, v7
	;; [unrolled: 3-line block ×3, first 2 shown]
	s_wait_alu 0xfffd
	v_cndmask_b32_e64 v15, 0, -1, vcc_lo
	v_cmp_eq_u32_e32 vcc_lo, s19, v10
	s_wait_alu 0xf1ff
	s_delay_alu instid0(VALU_DEP_2)
	v_cndmask_b32_e64 v7, v15, v7, s2
	s_wait_alu 0xfffd
	v_cndmask_b32_e32 v10, v14, v13, vcc_lo
	v_add_co_u32 v13, vcc_lo, v4, 1
	s_wait_alu 0xfffd
	v_add_co_ci_u32_e32 v14, vcc_lo, 0, v9, vcc_lo
	s_delay_alu instid0(VALU_DEP_3) | instskip(SKIP_2) | instid1(VALU_DEP_3)
	v_cmp_ne_u32_e32 vcc_lo, 0, v10
	s_wait_alu 0xfffd
	v_cndmask_b32_e32 v10, v13, v11, vcc_lo
	v_cndmask_b32_e32 v8, v14, v12, vcc_lo
	v_cmp_ne_u32_e32 vcc_lo, 0, v7
	s_wait_alu 0xfffd
	s_delay_alu instid0(VALU_DEP_2)
	v_dual_cndmask_b32 v7, v4, v10 :: v_dual_cndmask_b32 v8, v9, v8
.LBB0_4:                                ;   in Loop: Header=BB0_2 Depth=1
	s_wait_alu 0xfffe
	s_and_not1_saveexec_b32 s2, s20
	s_cbranch_execz .LBB0_6
; %bb.5:                                ;   in Loop: Header=BB0_2 Depth=1
	v_cvt_f32_u32_e32 v4, s18
	s_sub_co_i32 s20, 0, s18
	s_delay_alu instid0(VALU_DEP_1) | instskip(NEXT) | instid1(TRANS32_DEP_1)
	v_rcp_iflag_f32_e32 v4, v4
	v_mul_f32_e32 v4, 0x4f7ffffe, v4
	s_delay_alu instid0(VALU_DEP_1) | instskip(SKIP_1) | instid1(VALU_DEP_1)
	v_cvt_u32_f32_e32 v4, v4
	s_wait_alu 0xfffe
	v_mul_lo_u32 v7, s20, v4
	s_delay_alu instid0(VALU_DEP_1) | instskip(NEXT) | instid1(VALU_DEP_1)
	v_mul_hi_u32 v7, v4, v7
	v_add_nc_u32_e32 v4, v4, v7
	s_delay_alu instid0(VALU_DEP_1) | instskip(NEXT) | instid1(VALU_DEP_1)
	v_mul_hi_u32 v4, v5, v4
	v_mul_lo_u32 v7, v4, s18
	v_add_nc_u32_e32 v8, 1, v4
	s_delay_alu instid0(VALU_DEP_2) | instskip(NEXT) | instid1(VALU_DEP_1)
	v_sub_nc_u32_e32 v7, v5, v7
	v_subrev_nc_u32_e32 v9, s18, v7
	v_cmp_le_u32_e32 vcc_lo, s18, v7
	s_wait_alu 0xfffd
	s_delay_alu instid0(VALU_DEP_2) | instskip(NEXT) | instid1(VALU_DEP_1)
	v_dual_cndmask_b32 v7, v7, v9 :: v_dual_cndmask_b32 v4, v4, v8
	v_cmp_le_u32_e32 vcc_lo, s18, v7
	s_delay_alu instid0(VALU_DEP_2) | instskip(SKIP_1) | instid1(VALU_DEP_1)
	v_add_nc_u32_e32 v8, 1, v4
	s_wait_alu 0xfffd
	v_dual_cndmask_b32 v7, v4, v8 :: v_dual_mov_b32 v8, v3
.LBB0_6:                                ;   in Loop: Header=BB0_2 Depth=1
	s_wait_alu 0xfffe
	s_or_b32 exec_lo, exec_lo, s2
	s_load_b64 s[20:21], s[12:13], 0x0
	s_delay_alu instid0(VALU_DEP_1)
	v_mul_lo_u32 v4, v8, s18
	v_mul_lo_u32 v11, v7, s19
	v_mad_co_u64_u32 v[9:10], null, v7, s18, 0
	s_add_nc_u64 s[14:15], s[14:15], 1
	s_add_nc_u64 s[12:13], s[12:13], 8
	s_wait_alu 0xfffe
	v_cmp_ge_u64_e64 s2, s[14:15], s[6:7]
	s_add_nc_u64 s[16:17], s[16:17], 8
	s_delay_alu instid0(VALU_DEP_2) | instskip(NEXT) | instid1(VALU_DEP_3)
	v_add3_u32 v4, v10, v11, v4
	v_sub_co_u32 v5, vcc_lo, v5, v9
	s_wait_alu 0xfffd
	s_delay_alu instid0(VALU_DEP_2) | instskip(SKIP_3) | instid1(VALU_DEP_2)
	v_sub_co_ci_u32_e32 v4, vcc_lo, v6, v4, vcc_lo
	s_and_b32 vcc_lo, exec_lo, s2
	s_wait_kmcnt 0x0
	v_mul_lo_u32 v6, s21, v5
	v_mul_lo_u32 v4, s20, v4
	v_mad_co_u64_u32 v[1:2], null, s20, v5, v[1:2]
	s_delay_alu instid0(VALU_DEP_1)
	v_add3_u32 v2, v6, v2, v4
	s_wait_alu 0xfffe
	s_cbranch_vccnz .LBB0_9
; %bb.7:                                ;   in Loop: Header=BB0_2 Depth=1
	v_dual_mov_b32 v5, v7 :: v_dual_mov_b32 v6, v8
	s_branch .LBB0_2
.LBB0_8:
	v_dual_mov_b32 v8, v6 :: v_dual_mov_b32 v7, v5
.LBB0_9:
	s_lshl_b64 s[2:3], s[6:7], 3
	v_mul_hi_u32 v5, 0x226b903, v0
	s_wait_alu 0xfffe
	s_add_nc_u64 s[2:3], s[10:11], s[2:3]
	s_load_b64 s[2:3], s[2:3], 0x0
	s_load_b64 s[0:1], s[0:1], 0x20
	s_wait_kmcnt 0x0
	v_mul_lo_u32 v3, s2, v8
	v_mul_lo_u32 v4, s3, v7
	v_mad_co_u64_u32 v[1:2], null, s2, v7, v[1:2]
	v_cmp_gt_u64_e32 vcc_lo, s[0:1], v[7:8]
	s_delay_alu instid0(VALU_DEP_2) | instskip(SKIP_1) | instid1(VALU_DEP_2)
	v_add3_u32 v2, v4, v2, v3
	v_mul_u32_u24_e32 v3, 0x77, v5
	v_lshlrev_b64_e32 v[38:39], 3, v[1:2]
	s_delay_alu instid0(VALU_DEP_2)
	v_sub_nc_u32_e32 v36, v0, v3
	s_and_saveexec_b32 s1, vcc_lo
	s_cbranch_execz .LBB0_13
; %bb.10:
	s_delay_alu instid0(VALU_DEP_1)
	v_lshl_add_u32 v26, v36, 3, 0
	v_mov_b32_e32 v37, 0
	v_add_co_u32 v0, s0, s8, v38
	s_wait_alu 0xf1ff
	v_add_co_ci_u32_e64 v1, s0, s9, v39, s0
	v_add_nc_u32_e32 v28, 0xc00, v26
	v_lshlrev_b64_e32 v[2:3], 3, v[36:37]
	v_add_nc_u32_e32 v27, 0x400, v26
	v_add_nc_u32_e32 v29, 0x1400, v26
	s_mov_b32 s2, exec_lo
	v_add_nc_u32_e32 v30, 0x1c00, v26
	v_add_nc_u32_e32 v31, 0x2400, v26
	v_add_co_u32 v2, s0, v0, v2
	s_wait_alu 0xf1ff
	v_add_co_ci_u32_e64 v3, s0, v1, v3, s0
	s_clause 0xb
	global_load_b64 v[4:5], v[2:3], off
	global_load_b64 v[6:7], v[2:3], off offset:952
	global_load_b64 v[8:9], v[2:3], off offset:1904
	;; [unrolled: 1-line block ×11, first 2 shown]
	s_wait_loadcnt 0xa
	ds_store_2addr_b64 v26, v[4:5], v[6:7] offset1:119
	s_wait_loadcnt 0x8
	ds_store_2addr_b64 v27, v[8:9], v[10:11] offset0:110 offset1:229
	s_wait_loadcnt 0x6
	ds_store_2addr_b64 v28, v[12:13], v[14:15] offset0:92 offset1:211
	;; [unrolled: 2-line block ×5, first 2 shown]
	v_cmpx_eq_u32_e32 0x76, v36
	s_cbranch_execz .LBB0_12
; %bb.11:
	global_load_b64 v[0:1], v[0:1], off offset:11424
	v_mov_b32_e32 v36, 0x76
	s_wait_loadcnt 0x0
	ds_store_b64 v37, v[0:1] offset:11424
.LBB0_12:
	s_wait_alu 0xfffe
	s_or_b32 exec_lo, exec_lo, s2
.LBB0_13:
	s_wait_alu 0xfffe
	s_or_b32 exec_lo, exec_lo, s1
	v_lshlrev_b32_e32 v0, 3, v36
	global_wb scope:SCOPE_SE
	s_wait_dscnt 0x0
	s_barrier_signal -1
	s_barrier_wait -1
	global_inv scope:SCOPE_SE
	v_add_nc_u32_e32 v56, 0, v0
	v_sub_nc_u32_e32 v4, 0, v0
	s_mov_b32 s1, exec_lo
                                        ; implicit-def: $vgpr2_vgpr3
	ds_load_b32 v5, v56
	ds_load_b32 v6, v4 offset:11424
	s_wait_dscnt 0x0
	v_dual_sub_f32 v1, v5, v6 :: v_dual_add_f32 v0, v6, v5
	v_cmpx_ne_u32_e32 0, v36
	s_wait_alu 0xfffe
	s_xor_b32 s1, exec_lo, s1
	s_cbranch_execz .LBB0_15
; %bb.14:
	v_dual_mov_b32 v37, 0 :: v_dual_sub_f32 v8, v5, v6
	s_delay_alu instid0(VALU_DEP_1) | instskip(NEXT) | instid1(VALU_DEP_1)
	v_lshlrev_b64_e32 v[0:1], 3, v[36:37]
	v_add_co_u32 v0, s0, s4, v0
	s_wait_alu 0xf1ff
	s_delay_alu instid0(VALU_DEP_2)
	v_add_co_ci_u32_e64 v1, s0, s5, v1, s0
	global_load_b64 v[2:3], v[0:1], off offset:11288
	ds_load_b32 v0, v4 offset:11428
	ds_load_b32 v1, v56 offset:4
	v_add_f32_e32 v7, v6, v5
	s_wait_dscnt 0x0
	v_dual_add_f32 v9, v0, v1 :: v_dual_sub_f32 v0, v1, v0
	s_wait_loadcnt 0x0
	s_delay_alu instid0(VALU_DEP_2) | instskip(NEXT) | instid1(VALU_DEP_2)
	v_fma_f32 v5, -v8, v3, v7
	v_fma_f32 v6, v9, v3, -v0
	v_fma_f32 v10, v8, v3, v7
	v_fma_f32 v1, v9, v3, v0
	s_delay_alu instid0(VALU_DEP_3) | instskip(NEXT) | instid1(VALU_DEP_3)
	v_dual_fmac_f32 v5, v2, v9 :: v_dual_fmac_f32 v6, v8, v2
	v_fma_f32 v0, -v2, v9, v10
	s_delay_alu instid0(VALU_DEP_3)
	v_fmac_f32_e32 v1, v8, v2
	v_dual_mov_b32 v2, v36 :: v_dual_mov_b32 v3, v37
	ds_store_b64 v4, v[5:6] offset:11424
.LBB0_15:
	s_wait_alu 0xfffe
	s_and_not1_saveexec_b32 s0, s1
	s_cbranch_execz .LBB0_17
; %bb.16:
	v_mov_b32_e32 v7, 0
	ds_load_b64 v[2:3], v7 offset:5712
	s_wait_dscnt 0x0
	v_dual_mul_f32 v6, -2.0, v3 :: v_dual_add_f32 v5, v2, v2
	v_mov_b32_e32 v2, 0
	v_mov_b32_e32 v3, 0
	ds_store_b64 v7, v[5:6] offset:5712
.LBB0_17:
	s_wait_alu 0xfffe
	s_or_b32 exec_lo, exec_lo, s0
	v_lshlrev_b64_e32 v[2:3], 3, v[2:3]
	s_add_nc_u64 s[0:1], s[4:5], 0x2c18
	v_add_nc_u32_e32 v58, 0x1c00, v56
	s_wait_alu 0xfffe
	s_delay_alu instid0(VALU_DEP_2)
	v_add_co_u32 v2, s0, s0, v2
	s_wait_alu 0xf1ff
	v_add_co_ci_u32_e64 v3, s0, s1, v3, s0
	s_clause 0x4
	global_load_b64 v[5:6], v[2:3], off offset:952
	global_load_b64 v[7:8], v[2:3], off offset:1904
	;; [unrolled: 1-line block ×5, first 2 shown]
	ds_store_b64 v56, v[0:1]
	ds_load_b64 v[0:1], v56 offset:952
	ds_load_b64 v[13:14], v4 offset:10472
	s_mov_b32 s1, exec_lo
	s_wait_dscnt 0x0
	v_add_f32_e32 v15, v0, v13
	v_add_f32_e32 v16, v14, v1
	v_dual_sub_f32 v17, v0, v13 :: v_dual_sub_f32 v0, v1, v14
	s_wait_loadcnt 0x4
	s_delay_alu instid0(VALU_DEP_1) | instskip(NEXT) | instid1(VALU_DEP_2)
	v_fma_f32 v18, v17, v6, v15
	v_fma_f32 v1, v16, v6, v0
	v_fma_f32 v13, -v17, v6, v15
	v_fma_f32 v14, v16, v6, -v0
	s_delay_alu instid0(VALU_DEP_4) | instskip(NEXT) | instid1(VALU_DEP_4)
	v_fma_f32 v0, -v5, v16, v18
	v_fmac_f32_e32 v1, v17, v5
	s_delay_alu instid0(VALU_DEP_4) | instskip(NEXT) | instid1(VALU_DEP_4)
	v_fmac_f32_e32 v13, v5, v16
	v_fmac_f32_e32 v14, v17, v5
	ds_store_b64 v56, v[0:1] offset:952
	ds_store_b64 v4, v[13:14] offset:10472
	ds_load_b64 v[0:1], v56 offset:1904
	ds_load_b64 v[5:6], v4 offset:9520
	s_wait_dscnt 0x0
	v_add_f32_e32 v13, v0, v5
	v_add_f32_e32 v14, v6, v1
	v_dual_sub_f32 v15, v0, v5 :: v_dual_sub_f32 v0, v1, v6
	s_wait_loadcnt 0x3
	s_delay_alu instid0(VALU_DEP_1) | instskip(NEXT) | instid1(VALU_DEP_2)
	v_fma_f32 v16, v15, v8, v13
	v_fma_f32 v1, v14, v8, v0
	v_fma_f32 v5, -v15, v8, v13
	v_fma_f32 v6, v14, v8, -v0
	s_delay_alu instid0(VALU_DEP_4) | instskip(NEXT) | instid1(VALU_DEP_4)
	v_fma_f32 v0, -v7, v14, v16
	v_fmac_f32_e32 v1, v15, v7
	s_delay_alu instid0(VALU_DEP_4) | instskip(NEXT) | instid1(VALU_DEP_4)
	v_fmac_f32_e32 v5, v7, v14
	v_fmac_f32_e32 v6, v15, v7
	ds_store_b64 v56, v[0:1] offset:1904
	ds_store_b64 v4, v[5:6] offset:9520
	ds_load_b64 v[0:1], v56 offset:2856
	ds_load_b64 v[5:6], v4 offset:8568
	;; [unrolled: 20-line block ×3, first 2 shown]
	s_wait_dscnt 0x0
	v_add_f32_e32 v7, v0, v5
	v_add_f32_e32 v8, v6, v1
	v_dual_sub_f32 v9, v0, v5 :: v_dual_sub_f32 v0, v1, v6
	s_wait_loadcnt 0x1
	s_delay_alu instid0(VALU_DEP_1) | instskip(NEXT) | instid1(VALU_DEP_2)
	v_fma_f32 v10, v9, v12, v7
	v_fma_f32 v1, v8, v12, v0
	v_fma_f32 v5, -v9, v12, v7
	v_fma_f32 v6, v8, v12, -v0
	s_delay_alu instid0(VALU_DEP_4) | instskip(NEXT) | instid1(VALU_DEP_4)
	v_fma_f32 v0, -v11, v8, v10
	v_fmac_f32_e32 v1, v9, v11
	s_delay_alu instid0(VALU_DEP_3)
	v_dual_fmac_f32 v5, v11, v8 :: v_dual_fmac_f32 v6, v9, v11
	ds_store_b64 v56, v[0:1] offset:3808
	ds_store_b64 v4, v[5:6] offset:7616
	ds_load_b64 v[0:1], v56 offset:4760
	ds_load_b64 v[5:6], v4 offset:6664
	s_wait_dscnt 0x0
	v_add_f32_e32 v7, v0, v5
	v_sub_f32_e32 v9, v0, v5
	v_add_f32_e32 v8, v6, v1
	v_sub_f32_e32 v0, v1, v6
	s_wait_loadcnt 0x0
	s_delay_alu instid0(VALU_DEP_3) | instskip(SKIP_1) | instid1(VALU_DEP_3)
	v_fma_f32 v10, v9, v3, v7
	v_fma_f32 v5, -v9, v3, v7
	v_fma_f32 v1, v8, v3, v0
	s_delay_alu instid0(VALU_DEP_1) | instskip(SKIP_2) | instid1(VALU_DEP_2)
	v_fmac_f32_e32 v1, v9, v2
	v_fma_f32 v6, v8, v3, -v0
	v_fma_f32 v0, -v2, v8, v10
	v_dual_fmac_f32 v5, v2, v8 :: v_dual_fmac_f32 v6, v9, v2
	v_add_nc_u32_e32 v2, 0x2000, v56
	ds_store_b64 v56, v[0:1] offset:4760
	ds_store_b64 v4, v[5:6] offset:6664
	global_wb scope:SCOPE_SE
	s_wait_dscnt 0x0
	s_barrier_signal -1
	s_barrier_wait -1
	global_inv scope:SCOPE_SE
	global_wb scope:SCOPE_SE
	s_barrier_signal -1
	s_barrier_wait -1
	global_inv scope:SCOPE_SE
	ds_load_2addr_b64 v[4:7], v56 offset1:84
	ds_load_b64 v[40:41], v56 offset:10752
	ds_load_2addr_b64 v[32:35], v56 offset0:168 offset1:252
	ds_load_2addr_b64 v[8:11], v2 offset0:152 offset1:236
	v_add_nc_u32_e32 v0, 0x800, v56
	v_add_nc_u32_e32 v37, 0xc00, v56
	ds_load_2addr_b64 v[28:31], v0 offset0:80 offset1:164
	ds_load_2addr_b64 v[12:15], v58 offset0:112 offset1:196
	v_add_nc_u32_e32 v0, 0x1000, v56
	v_add_nc_u32_e32 v57, 0x1800, v56
	s_wait_dscnt 0x4
	v_sub_f32_e32 v79, v6, v40
	v_add_f32_e32 v63, v41, v7
	s_wait_dscnt 0x2
	v_sub_f32_e32 v76, v33, v11
	v_add_f32_e32 v62, v8, v34
	ds_load_2addr_b64 v[24:27], v37 offset0:120 offset1:204
	ds_load_2addr_b64 v[20:23], v0 offset0:160 offset1:244
	;; [unrolled: 1-line block ×3, first 2 shown]
	v_sub_f32_e32 v77, v35, v9
	v_sub_f32_e32 v75, v7, v41
	s_wait_dscnt 0x3
	v_dual_sub_f32 v85, v32, v10 :: v_dual_sub_f32 v88, v30, v12
	v_dual_sub_f32 v87, v34, v8 :: v_dual_sub_f32 v84, v31, v13
	v_sub_f32_e32 v86, v28, v14
	v_dual_mul_f32 v114, 0xbf7ee86f, v79 :: v_dual_add_f32 v59, v40, v6
	v_dual_add_f32 v64, v9, v35 :: v_dual_add_f32 v61, v11, v33
	v_add_f32_e32 v68, v13, v31
	v_add_f32_e32 v66, v15, v29
	v_dual_sub_f32 v78, v29, v15 :: v_dual_mul_f32 v113, 0xbe3c28d5, v85
	v_mul_f32_e32 v128, 0xbe3c28d5, v88
	v_mul_f32_e32 v130, 0x3f2c7751, v87
	v_fma_f32 v1, 0x3dbcf732, v63, -v114
	s_wait_dscnt 0x0
	v_dual_add_f32 v73, v22, v20 :: v_dual_add_f32 v72, v17, v27
	v_mul_f32_e32 v51, 0x3f2c7751, v77
	v_dual_add_f32 v69, v18, v24 :: v_dual_sub_f32 v80, v27, v17
	v_dual_mul_f32 v92, 0x3eb8f4ab, v78 :: v_dual_add_f32 v1, v5, v1
	s_delay_alu instid0(VALU_DEP_3) | instskip(SKIP_4) | instid1(VALU_DEP_4)
	v_fmamk_f32 v108, v62, 0x3f3d2fb0, v51
	v_mul_f32_e32 v125, 0xbf763a35, v75
	v_fma_f32 v3, 0xbf7ba420, v61, -v113
	v_mul_f32_e32 v52, 0x3f4c4adb, v80
	v_dual_mul_f32 v124, 0x3f06c442, v76 :: v_dual_mul_f32 v131, 0x3f06c442, v85
	v_fmamk_f32 v106, v59, 0xbe8c1d8e, v125
	v_mul_f32_e32 v101, 0x3f763a35, v87
	v_add_f32_e32 v1, v3, v1
	v_dual_add_f32 v67, v12, v30 :: v_dual_sub_f32 v90, v26, v16
	s_delay_alu instid0(VALU_DEP_4) | instskip(NEXT) | instid1(VALU_DEP_4)
	v_add_f32_e32 v106, v4, v106
	v_fma_f32 v43, 0xbe8c1d8e, v64, -v101
	v_dual_mul_f32 v132, 0xbf763a35, v79 :: v_dual_add_f32 v71, v16, v26
	v_mul_f32_e32 v100, 0xbf7ee86f, v75
	v_fma_f32 v117, 0xbf59a7d5, v61, -v131
	s_delay_alu instid0(VALU_DEP_4) | instskip(NEXT) | instid1(VALU_DEP_4)
	v_add_f32_e32 v1, v43, v1
	v_fma_f32 v116, 0xbe8c1d8e, v63, -v132
	v_dual_mul_f32 v99, 0x3eb8f4ab, v86 :: v_dual_add_f32 v60, v10, v32
	v_dual_sub_f32 v83, v25, v19 :: v_dual_sub_f32 v82, v20, v22
	s_delay_alu instid0(VALU_DEP_3) | instskip(SKIP_3) | instid1(VALU_DEP_4)
	v_add_f32_e32 v116, v5, v116
	v_dual_sub_f32 v81, v21, v23 :: v_dual_mul_f32 v98, 0xbe3c28d5, v76
	v_mul_f32_e32 v94, 0x3f4c4adb, v90
	v_fma_f32 v45, 0x3f6eb680, v66, -v99
	v_add_f32_e32 v3, v117, v116
	v_fma_f32 v118, 0x3f3d2fb0, v64, -v130
	v_fmamk_f32 v0, v59, 0x3dbcf732, v100
	s_delay_alu instid0(VALU_DEP_4) | instskip(SKIP_1) | instid1(VALU_DEP_4)
	v_dual_fmamk_f32 v2, v60, 0xbf7ba420, v98 :: v_dual_add_f32 v1, v45, v1
	v_fmamk_f32 v107, v60, 0xbf59a7d5, v124
	v_add_f32_e32 v3, v118, v3
	s_delay_alu instid0(VALU_DEP_4) | instskip(SKIP_3) | instid1(VALU_DEP_4)
	v_dual_mul_f32 v93, 0x3f763a35, v77 :: v_dual_add_f32 v0, v4, v0
	v_mul_f32_e32 v53, 0xbf06c442, v83
	v_mul_f32_e32 v95, 0xbf65296c, v88
	v_dual_add_f32 v65, v14, v28 :: v_dual_add_f32 v70, v19, v25
	v_add_f32_e32 v0, v2, v0
	s_delay_alu instid0(VALU_DEP_4)
	v_dual_fmamk_f32 v48, v69, 0xbf59a7d5, v53 :: v_dual_sub_f32 v89, v24, v18
	v_add_f32_e32 v74, v23, v21
	v_add_f32_e32 v2, v107, v106
	v_fma_f32 v47, 0x3ee437d1, v68, -v95
	v_fmamk_f32 v42, v62, 0xbe8c1d8e, v93
	v_dual_mul_f32 v55, 0xbf65296c, v84 :: v_dual_mul_f32 v50, 0xbf65296c, v78
	s_delay_alu instid0(VALU_DEP_3) | instskip(NEXT) | instid1(VALU_DEP_3)
	v_dual_fmamk_f32 v44, v65, 0x3f6eb680, v92 :: v_dual_add_f32 v1, v47, v1
	v_dual_mul_f32 v97, 0xbf06c442, v89 :: v_dual_add_f32 v0, v42, v0
	v_mul_f32_e32 v103, 0xbf4c4adb, v81
	s_delay_alu instid0(VALU_DEP_4) | instskip(SKIP_1) | instid1(VALU_DEP_4)
	v_dual_fmamk_f32 v46, v67, 0x3ee437d1, v55 :: v_dual_fmamk_f32 v109, v65, 0x3ee437d1, v50
	v_dual_mul_f32 v54, 0x3f2c7751, v81 :: v_dual_mul_f32 v91, 0x3f2c7751, v82
	v_dual_add_f32 v0, v44, v0 :: v_dual_mul_f32 v129, 0xbf65296c, v86
	v_dual_mul_f32 v122, 0x3f7ee86f, v83 :: v_dual_mul_f32 v127, 0x3f7ee86f, v89
	v_fma_f32 v42, 0xbf7ba420, v68, -v128
	s_delay_alu instid0(VALU_DEP_3) | instskip(NEXT) | instid1(VALU_DEP_4)
	v_add_f32_e32 v0, v46, v0
	v_fma_f32 v106, 0x3ee437d1, v66, -v129
	v_fma_f32 v49, 0xbf59a7d5, v70, -v97
	;; [unrolled: 1-line block ×4, first 2 shown]
	v_dual_mul_f32 v119, 0xbeb8f4ab, v80 :: v_dual_mul_f32 v126, 0xbeb8f4ab, v90
	v_dual_add_f32 v3, v106, v3 :: v_dual_fmamk_f32 v104, v73, 0x3f3d2fb0, v54
	v_add_f32_e32 v1, v49, v1
	v_dual_mul_f32 v121, 0xbf4c4adb, v82 :: v_dual_add_f32 v0, v48, v0
	s_delay_alu instid0(VALU_DEP_3) | instskip(SKIP_1) | instid1(VALU_DEP_4)
	v_dual_add_f32 v3, v42, v3 :: v_dual_fmamk_f32 v96, v71, 0xbf1a4643, v52
	v_fmamk_f32 v115, v73, 0xbf1a4643, v103
	v_add_f32_e32 v1, v102, v1
	v_fma_f32 v105, 0x3f3d2fb0, v74, -v91
	s_delay_alu instid0(VALU_DEP_4)
	v_dual_add_f32 v3, v43, v3 :: v_dual_add_f32 v2, v108, v2
	v_mul_f32_e32 v123, 0xbe3c28d5, v84
	v_fmamk_f32 v112, v71, 0x3f6eb680, v119
	v_fma_f32 v42, 0x3f6eb680, v72, -v126
	v_fma_f32 v43, 0xbf1a4643, v74, -v121
	v_add_f32_e32 v2, v109, v2
	v_fmamk_f32 v110, v67, 0xbf7ba420, v123
	s_delay_alu instid0(VALU_DEP_4) | instskip(SKIP_1) | instid1(VALU_DEP_3)
	v_dual_fmamk_f32 v111, v69, 0x3dbcf732, v122 :: v_dual_add_f32 v42, v42, v3
	v_dual_add_f32 v0, v96, v0 :: v_dual_add_f32 v3, v105, v1
	v_add_f32_e32 v2, v110, v2
	global_wb scope:SCOPE_SE
	v_add_f32_e32 v1, v43, v42
	s_barrier_signal -1
	s_barrier_wait -1
	v_add_f32_e32 v2, v111, v2
	global_inv scope:SCOPE_SE
	v_add_f32_e32 v44, v112, v2
	v_add_f32_e32 v2, v104, v0
	s_delay_alu instid0(VALU_DEP_2)
	v_add_f32_e32 v0, v115, v44
	v_cmpx_gt_u32_e32 0x54, v36
	s_cbranch_execz .LBB0_19
; %bb.18:
	v_mul_f32_e32 v49, 0xbf4c4adb, v75
	v_mul_f32_e32 v48, 0xbf1a4643, v63
	;; [unrolled: 1-line block ×5, first 2 shown]
	v_fmamk_f32 v43, v59, 0xbf1a4643, v49
	v_mul_f32_e32 v134, 0x3f6eb680, v64
	v_fmamk_f32 v47, v65, 0xbf59a7d5, v137
	v_mul_f32_e32 v116, 0xbf06c442, v77
	s_delay_alu instid0(VALU_DEP_4) | instskip(SKIP_2) | instid1(VALU_DEP_3)
	v_dual_fmamk_f32 v110, v59, 0xbf7ba420, v107 :: v_dual_add_f32 v43, v4, v43
	v_fmamk_f32 v42, v79, 0x3f4c4adb, v48
	v_mul_f32_e32 v143, 0xbe3c28d5, v80
	v_dual_mul_f32 v145, 0x3f65296c, v81 :: v_dual_add_f32 v110, v4, v110
	s_delay_alu instid0(VALU_DEP_3) | instskip(SKIP_2) | instid1(VALU_DEP_4)
	v_dual_mul_f32 v111, 0x3eb8f4ab, v76 :: v_dual_add_f32 v42, v5, v42
	v_mul_f32_e32 v133, 0x3f763a35, v76
	v_mul_f32_e32 v96, 0xbe8c1d8e, v61
	v_dual_mul_f32 v144, 0x3ee437d1, v74 :: v_dual_fmamk_f32 v109, v73, 0x3ee437d1, v145
	s_delay_alu instid0(VALU_DEP_4) | instskip(NEXT) | instid1(VALU_DEP_4)
	v_fmamk_f32 v115, v60, 0x3f6eb680, v111
	v_fmamk_f32 v45, v60, 0xbe8c1d8e, v133
	s_delay_alu instid0(VALU_DEP_4) | instskip(SKIP_2) | instid1(VALU_DEP_4)
	v_fmamk_f32 v44, v85, 0xbf763a35, v96
	v_mul_f32_e32 v112, 0xbe8c1d8e, v72
	v_fma_f32 v49, 0xbf1a4643, v59, -v49
	v_dual_add_f32 v110, v115, v110 :: v_dual_add_f32 v43, v45, v43
	v_fmamk_f32 v46, v87, 0x3eb8f4ab, v134
	v_dual_add_f32 v42, v44, v42 :: v_dual_mul_f32 v135, 0xbeb8f4ab, v77
	v_fmamk_f32 v45, v86, 0x3f06c442, v136
	v_fmamk_f32 v115, v62, 0xbf59a7d5, v116
	v_mul_f32_e32 v142, 0xbf7ba420, v72
	s_delay_alu instid0(VALU_DEP_4) | instskip(SKIP_2) | instid1(VALU_DEP_4)
	v_dual_add_f32 v42, v46, v42 :: v_dual_mul_f32 v139, 0x3f7ee86f, v84
	v_mul_f32_e32 v46, 0xbf7ba420, v63
	v_fmac_f32_e32 v48, 0xbf4c4adb, v79
	v_fmamk_f32 v102, v90, 0x3e3c28d5, v142
	s_delay_alu instid0(VALU_DEP_4)
	v_add_f32_e32 v42, v45, v42
	v_dual_mul_f32 v138, 0x3dbcf732, v68 :: v_dual_fmamk_f32 v45, v67, 0x3dbcf732, v139
	v_fmamk_f32 v44, v62, 0x3f6eb680, v135
	v_add_f32_e32 v48, v5, v48
	v_fmac_f32_e32 v96, 0x3f763a35, v85
	v_fmac_f32_e32 v134, 0xbeb8f4ab, v87
	s_delay_alu instid0(VALU_DEP_4) | instskip(SKIP_1) | instid1(VALU_DEP_4)
	v_dual_fmac_f32 v136, 0xbf06c442, v86 :: v_dual_add_f32 v43, v44, v43
	v_mul_f32_e32 v118, 0xbf7ee86f, v87
	v_add_f32_e32 v48, v96, v48
	v_fma_f32 v96, 0xbe8c1d8e, v60, -v133
	v_fma_f32 v135, 0x3f6eb680, v62, -v135
	v_add_f32_e32 v43, v47, v43
	s_delay_alu instid0(VALU_DEP_4) | instskip(SKIP_2) | instid1(VALU_DEP_4)
	v_dual_mul_f32 v47, 0x3f6eb680, v61 :: v_dual_add_f32 v48, v134, v48
	v_mul_f32_e32 v117, 0x3f2c7751, v78
	v_add_f32_e32 v49, v4, v49
	v_dual_add_f32 v43, v45, v43 :: v_dual_mul_f32 v140, 0x3f3d2fb0, v70
	v_fmamk_f32 v45, v79, 0x3e3c28d5, v46
	v_fmamk_f32 v44, v88, 0xbf7ee86f, v138
	;; [unrolled: 1-line block ×3, first 2 shown]
	v_add_f32_e32 v48, v136, v48
	s_delay_alu instid0(VALU_DEP_4) | instskip(NEXT) | instid1(VALU_DEP_4)
	v_dual_fmac_f32 v138, 0x3f7ee86f, v88 :: v_dual_add_f32 v45, v5, v45
	v_add_f32_e32 v42, v44, v42
	v_fmamk_f32 v44, v89, 0x3f2c7751, v140
	v_mul_f32_e32 v141, 0xbf2c7751, v83
	s_delay_alu instid0(VALU_DEP_2) | instskip(NEXT) | instid1(VALU_DEP_1)
	v_dual_add_f32 v7, v5, v7 :: v_dual_add_f32 v42, v44, v42
	v_dual_fmamk_f32 v44, v69, 0x3f3d2fb0, v141 :: v_dual_add_f32 v7, v7, v33
	s_delay_alu instid0(VALU_DEP_1) | instskip(SKIP_4) | instid1(VALU_DEP_3)
	v_dual_add_f32 v42, v102, v42 :: v_dual_add_f32 v43, v44, v43
	v_add_f32_e32 v44, v104, v45
	v_fmamk_f32 v104, v71, 0xbf7ba420, v143
	v_mul_f32_e32 v105, 0xbf59a7d5, v64
	v_dual_mul_f32 v102, 0x3f3d2fb0, v66 :: v_dual_add_f32 v7, v7, v35
	v_dual_mul_f32 v35, 0xbf7ee86f, v90 :: v_dual_add_f32 v104, v104, v43
	v_fmamk_f32 v43, v82, 0xbf65296c, v144
	s_delay_alu instid0(VALU_DEP_4) | instskip(SKIP_2) | instid1(VALU_DEP_4)
	v_fmamk_f32 v45, v87, 0x3f06c442, v105
	v_fmac_f32_e32 v105, 0xbf06c442, v87
	v_dual_fmac_f32 v144, 0x3f65296c, v82 :: v_dual_add_f32 v7, v7, v29
	v_dual_add_f32 v43, v43, v42 :: v_dual_fmac_f32 v46, 0xbe3c28d5, v79
	v_add_f32_e32 v42, v109, v104
	v_dual_add_f32 v44, v45, v44 :: v_dual_fmamk_f32 v45, v86, 0xbf2c7751, v102
	s_delay_alu instid0(VALU_DEP_3) | instskip(SKIP_1) | instid1(VALU_DEP_3)
	v_dual_fmac_f32 v47, 0x3eb8f4ab, v85 :: v_dual_add_f32 v46, v5, v46
	v_dual_fmamk_f32 v104, v65, 0x3f3d2fb0, v117 :: v_dual_add_f32 v7, v7, v31
	v_dual_add_f32 v44, v45, v44 :: v_dual_mul_f32 v31, 0xbf2c7751, v79
	s_delay_alu instid0(VALU_DEP_3) | instskip(SKIP_2) | instid1(VALU_DEP_3)
	v_dual_add_f32 v46, v47, v46 :: v_dual_mul_f32 v47, 0x3f65296c, v83
	v_mul_f32_e32 v108, 0x3ee437d1, v70
	v_mul_f32_e32 v109, 0xbf4c4adb, v84
	v_dual_add_f32 v7, v7, v25 :: v_dual_add_f32 v46, v105, v46
	s_delay_alu instid0(VALU_DEP_4) | instskip(SKIP_1) | instid1(VALU_DEP_3)
	v_fmamk_f32 v105, v69, 0x3ee437d1, v47
	v_fma_f32 v47, 0x3ee437d1, v69, -v47
	v_dual_mul_f32 v106, 0xbf1a4643, v68 :: v_dual_add_f32 v7, v7, v27
	v_fmamk_f32 v25, v63, 0x3f3d2fb0, v31
	v_fma_f32 v31, 0x3f3d2fb0, v63, -v31
	v_mul_f32_e32 v27, 0xbf06c442, v82
	s_delay_alu instid0(VALU_DEP_4) | instskip(NEXT) | instid1(VALU_DEP_4)
	v_fmamk_f32 v45, v88, 0x3f4c4adb, v106
	v_dual_add_f32 v6, v4, v6 :: v_dual_add_f32 v25, v5, v25
	v_add_f32_e32 v7, v7, v21
	v_add_f32_e32 v31, v5, v31
	s_delay_alu instid0(VALU_DEP_4) | instskip(SKIP_1) | instid1(VALU_DEP_4)
	v_add_f32_e32 v44, v45, v44
	v_fmamk_f32 v45, v89, 0xbf65296c, v108
	v_dual_fmac_f32 v108, 0x3f65296c, v89 :: v_dual_add_f32 v23, v7, v23
	v_fmamk_f32 v7, v74, 0xbf59a7d5, v27
	v_add_f32_e32 v6, v6, v32
	s_delay_alu instid0(VALU_DEP_4) | instskip(SKIP_1) | instid1(VALU_DEP_3)
	v_dual_add_f32 v44, v45, v44 :: v_dual_fmamk_f32 v45, v90, 0x3f763a35, v112
	v_fma_f32 v107, 0xbf7ba420, v59, -v107
	v_dual_add_f32 v17, v23, v17 :: v_dual_add_f32 v6, v6, v34
	s_delay_alu instid0(VALU_DEP_3) | instskip(SKIP_2) | instid1(VALU_DEP_4)
	v_dual_add_f32 v44, v45, v44 :: v_dual_add_f32 v45, v115, v110
	v_fmamk_f32 v110, v67, 0xbf1a4643, v109
	v_mul_f32_e32 v115, 0x3f4c4adb, v86
	v_add_f32_e32 v17, v17, v19
	s_delay_alu instid0(VALU_DEP_4)
	v_add_f32_e32 v45, v104, v45
	v_add_f32_e32 v104, v4, v107
	v_fma_f32 v107, 0x3f6eb680, v60, -v111
	v_fmamk_f32 v111, v66, 0xbf1a4643, v115
	v_add_f32_e32 v13, v17, v13
	v_dual_add_f32 v45, v110, v45 :: v_dual_mul_f32 v110, 0xbf763a35, v80
	s_delay_alu instid0(VALU_DEP_4) | instskip(SKIP_1) | instid1(VALU_DEP_3)
	v_add_f32_e32 v104, v107, v104
	v_fma_f32 v107, 0xbf59a7d5, v62, -v116
	v_dual_mul_f32 v116, 0xbf06c442, v75 :: v_dual_add_f32 v45, v105, v45
	s_delay_alu instid0(VALU_DEP_4) | instskip(SKIP_1) | instid1(VALU_DEP_4)
	v_fmamk_f32 v105, v71, 0xbe8c1d8e, v110
	v_fmac_f32_e32 v112, 0xbf763a35, v90
	v_add_f32_e32 v104, v107, v104
	v_fma_f32 v107, 0x3f3d2fb0, v65, -v117
	v_mul_f32_e32 v117, 0x3f65296c, v76
	v_dual_add_f32 v105, v105, v45 :: v_dual_fmac_f32 v102, 0x3f2c7751, v86
	v_fma_f32 v115, 0xbf1a4643, v66, -v115
	s_delay_alu instid0(VALU_DEP_2) | instskip(SKIP_3) | instid1(VALU_DEP_2)
	v_add_f32_e32 v46, v102, v46
	v_add_f32_e32 v102, v107, v104
	v_fma_f32 v104, 0xbf1a4643, v67, -v109
	v_mul_f32_e32 v107, 0x3f7ee86f, v81
	v_dual_mul_f32 v109, 0x3f65296c, v85 :: v_dual_add_f32 v102, v104, v102
	s_delay_alu instid0(VALU_DEP_1) | instskip(SKIP_1) | instid1(VALU_DEP_4)
	v_dual_mul_f32 v104, 0xbf06c442, v79 :: v_dual_add_f32 v47, v47, v102
	v_fmac_f32_e32 v106, 0xbf4c4adb, v88
	v_fmamk_f32 v102, v73, 0x3dbcf732, v107
	v_fma_f32 v107, 0x3dbcf732, v73, -v107
	s_delay_alu instid0(VALU_DEP_3) | instskip(SKIP_1) | instid1(VALU_DEP_1)
	v_add_f32_e32 v46, v106, v46
	v_mul_f32_e32 v106, 0x3dbcf732, v74
	v_dual_add_f32 v46, v108, v46 :: v_dual_fmamk_f32 v45, v82, 0xbf7ee86f, v106
	v_fma_f32 v108, 0xbe8c1d8e, v71, -v110
	v_fmac_f32_e32 v106, 0x3f7ee86f, v82
	v_mul_f32_e32 v110, 0xbeb8f4ab, v88
	s_delay_alu instid0(VALU_DEP_4) | instskip(NEXT) | instid1(VALU_DEP_4)
	v_dual_add_f32 v45, v45, v44 :: v_dual_add_f32 v44, v102, v105
	v_dual_add_f32 v102, v108, v47 :: v_dual_fmamk_f32 v105, v63, 0xbf59a7d5, v104
	v_add_f32_e32 v46, v112, v46
	v_mul_f32_e32 v108, 0xbf7ee86f, v77
	s_delay_alu instid0(VALU_DEP_3) | instskip(NEXT) | instid1(VALU_DEP_3)
	v_dual_fmamk_f32 v120, v68, 0x3f6eb680, v110 :: v_dual_add_f32 v105, v5, v105
	v_dual_add_f32 v47, v106, v46 :: v_dual_fmamk_f32 v106, v61, 0x3ee437d1, v109
	v_add_f32_e32 v46, v107, v102
	v_fma_f32 v102, 0xbf59a7d5, v59, -v116
	v_fma_f32 v107, 0x3ee437d1, v60, -v117
	v_fma_f32 v109, 0x3ee437d1, v61, -v109
	v_dual_add_f32 v105, v106, v105 :: v_dual_fmamk_f32 v106, v64, 0x3dbcf732, v118
	s_delay_alu instid0(VALU_DEP_4) | instskip(NEXT) | instid1(VALU_DEP_2)
	v_dual_add_f32 v102, v4, v102 :: v_dual_fmac_f32 v117, 0x3ee437d1, v60
	v_dual_add_f32 v106, v106, v105 :: v_dual_mul_f32 v105, 0x3f4c4adb, v78
	s_delay_alu instid0(VALU_DEP_2) | instskip(SKIP_1) | instid1(VALU_DEP_3)
	v_add_f32_e32 v102, v107, v102
	v_fma_f32 v107, 0x3dbcf732, v62, -v108
	v_dual_add_f32 v112, v111, v106 :: v_dual_mul_f32 v111, 0xbe3c28d5, v89
	v_mul_f32_e32 v106, 0xbeb8f4ab, v84
	s_delay_alu instid0(VALU_DEP_3) | instskip(SKIP_1) | instid1(VALU_DEP_4)
	v_add_f32_e32 v102, v107, v102
	v_fma_f32 v107, 0xbf1a4643, v65, -v105
	v_add_f32_e32 v120, v120, v112
	v_fmamk_f32 v146, v70, 0xbf7ba420, v111
	v_mul_f32_e32 v112, 0x3f2c7751, v90
	v_fma_f32 v147, 0x3f6eb680, v67, -v106
	v_dual_add_f32 v102, v107, v102 :: v_dual_mul_f32 v107, 0xbe3c28d5, v83
	s_delay_alu instid0(VALU_DEP_4) | instskip(NEXT) | instid1(VALU_DEP_4)
	v_add_f32_e32 v120, v146, v120
	v_fmamk_f32 v146, v72, 0x3f3d2fb0, v112
	v_fmac_f32_e32 v105, 0xbf1a4643, v65
	s_delay_alu instid0(VALU_DEP_4)
	v_add_f32_e32 v147, v147, v102
	v_fma_f32 v148, 0xbf7ba420, v69, -v107
	v_mul_f32_e32 v102, 0x3f2c7751, v80
	v_add_f32_e32 v146, v146, v120
	v_mul_f32_e32 v120, 0xbf763a35, v82
	v_fmac_f32_e32 v107, 0xbf7ba420, v69
	v_add_f32_e32 v147, v148, v147
	v_fma_f32 v148, 0x3f3d2fb0, v71, -v102
	s_delay_alu instid0(VALU_DEP_1) | instskip(SKIP_1) | instid1(VALU_DEP_2)
	v_dual_fmamk_f32 v134, v74, 0xbe8c1d8e, v120 :: v_dual_add_f32 v133, v148, v147
	v_add_f32_e32 v147, v96, v49
	v_dual_mul_f32 v96, 0xbf763a35, v81 :: v_dual_add_f32 v49, v134, v146
	s_delay_alu instid0(VALU_DEP_2) | instskip(SKIP_1) | instid1(VALU_DEP_3)
	v_add_f32_e32 v134, v135, v147
	v_fma_f32 v135, 0xbf59a7d5, v65, -v137
	v_fma_f32 v136, 0xbe8c1d8e, v73, -v96
	v_dual_add_f32 v137, v138, v48 :: v_dual_mul_f32 v138, 0xbe8c1d8e, v63
	s_delay_alu instid0(VALU_DEP_3) | instskip(SKIP_1) | instid1(VALU_DEP_4)
	v_add_f32_e32 v134, v135, v134
	v_fma_f32 v135, 0x3dbcf732, v67, -v139
	v_add_f32_e32 v48, v136, v133
	s_delay_alu instid0(VALU_DEP_4) | instskip(NEXT) | instid1(VALU_DEP_3)
	v_dual_mul_f32 v133, 0xbf59a7d5, v61 :: v_dual_add_f32 v132, v132, v138
	v_add_f32_e32 v134, v135, v134
	v_fma_f32 v135, 0x3f3d2fb0, v69, -v141
	s_delay_alu instid0(VALU_DEP_3) | instskip(NEXT) | instid1(VALU_DEP_2)
	v_dual_add_f32 v131, v131, v133 :: v_dual_add_f32 v132, v5, v132
	v_dual_mul_f32 v133, 0x3f3d2fb0, v64 :: v_dual_add_f32 v134, v135, v134
	v_fma_f32 v135, 0xbf7ba420, v71, -v143
	s_delay_alu instid0(VALU_DEP_2) | instskip(NEXT) | instid1(VALU_DEP_2)
	v_dual_add_f32 v131, v131, v132 :: v_dual_add_f32 v130, v130, v133
	v_dual_mul_f32 v133, 0xbe8c1d8e, v59 :: v_dual_add_f32 v134, v135, v134
	s_delay_alu instid0(VALU_DEP_2) | instskip(SKIP_1) | instid1(VALU_DEP_3)
	v_dual_mul_f32 v135, 0x3ee437d1, v66 :: v_dual_add_f32 v130, v130, v131
	v_mul_f32_e32 v131, 0xbf59a7d5, v60
	v_sub_f32_e32 v125, v133, v125
	v_mul_f32_e32 v133, 0xbf7ba420, v68
	s_delay_alu instid0(VALU_DEP_4) | instskip(NEXT) | instid1(VALU_DEP_4)
	v_add_f32_e32 v129, v129, v135
	v_dual_mul_f32 v135, 0x3f3d2fb0, v62 :: v_dual_sub_f32 v124, v131, v124
	s_delay_alu instid0(VALU_DEP_4) | instskip(NEXT) | instid1(VALU_DEP_3)
	v_add_f32_e32 v125, v4, v125
	v_dual_add_f32 v128, v128, v133 :: v_dual_add_f32 v129, v129, v130
	s_delay_alu instid0(VALU_DEP_3) | instskip(NEXT) | instid1(VALU_DEP_3)
	v_dual_sub_f32 v130, v135, v51 :: v_dual_mul_f32 v133, 0x3ee437d1, v65
	v_dual_add_f32 v124, v124, v125 :: v_dual_mul_f32 v125, 0x3dbcf732, v70
	s_delay_alu instid0(VALU_DEP_3) | instskip(SKIP_1) | instid1(VALU_DEP_3)
	v_dual_add_f32 v128, v128, v129 :: v_dual_mul_f32 v129, 0xbf7ba420, v67
	v_fma_f32 v131, 0x3ee437d1, v73, -v145
	v_dual_add_f32 v124, v130, v124 :: v_dual_add_f32 v125, v127, v125
	v_sub_f32_e32 v127, v133, v50
	s_delay_alu instid0(VALU_DEP_4) | instskip(SKIP_1) | instid1(VALU_DEP_4)
	v_sub_f32_e32 v123, v129, v123
	v_mul_f32_e32 v129, 0x3dbcf732, v69
	v_dual_fmac_f32 v116, 0xbf59a7d5, v59 :: v_dual_add_f32 v125, v125, v128
	v_mul_f32_e32 v128, 0x3f6eb680, v72
	v_dual_add_f32 v124, v127, v124 :: v_dual_mul_f32 v127, 0x3dbcf732, v63
	s_delay_alu instid0(VALU_DEP_4) | instskip(NEXT) | instid1(VALU_DEP_4)
	v_sub_f32_e32 v122, v129, v122
	v_add_f32_e32 v116, v4, v116
	s_delay_alu instid0(VALU_DEP_4) | instskip(NEXT) | instid1(VALU_DEP_4)
	v_add_f32_e32 v126, v126, v128
	v_dual_add_f32 v123, v123, v124 :: v_dual_add_f32 v114, v114, v127
	s_delay_alu instid0(VALU_DEP_2) | instskip(SKIP_1) | instid1(VALU_DEP_3)
	v_add_f32_e32 v124, v126, v125
	v_mul_f32_e32 v128, 0xbf7ba420, v61
	v_dual_add_f32 v114, v5, v114 :: v_dual_mul_f32 v125, 0xbe8c1d8e, v64
	s_delay_alu instid0(VALU_DEP_4) | instskip(SKIP_1) | instid1(VALU_DEP_4)
	v_add_f32_e32 v122, v122, v123
	v_mul_f32_e32 v123, 0x3dbcf732, v59
	v_dual_add_f32 v113, v113, v128 :: v_dual_mul_f32 v126, 0x3f6eb680, v71
	s_delay_alu instid0(VALU_DEP_4) | instskip(NEXT) | instid1(VALU_DEP_3)
	v_add_f32_e32 v101, v101, v125
	v_dual_mul_f32 v125, 0xbf1a4643, v74 :: v_dual_sub_f32 v100, v123, v100
	s_delay_alu instid0(VALU_DEP_3) | instskip(NEXT) | instid1(VALU_DEP_4)
	v_dual_add_f32 v113, v113, v114 :: v_dual_mul_f32 v114, 0xbf7ba420, v60
	v_sub_f32_e32 v119, v126, v119
	s_delay_alu instid0(VALU_DEP_3) | instskip(NEXT) | instid1(VALU_DEP_3)
	v_dual_mul_f32 v123, 0x3f6eb680, v66 :: v_dual_add_f32 v100, v4, v100
	v_dual_add_f32 v101, v101, v113 :: v_dual_sub_f32 v98, v114, v98
	v_mul_f32_e32 v113, 0xbe8c1d8e, v62
	s_delay_alu instid0(VALU_DEP_3) | instskip(SKIP_1) | instid1(VALU_DEP_4)
	v_dual_fmac_f32 v140, 0xbf2c7751, v89 :: v_dual_add_f32 v99, v99, v123
	v_fmac_f32_e32 v102, 0x3f3d2fb0, v71
	v_add_f32_e32 v98, v98, v100
	s_delay_alu instid0(VALU_DEP_4) | instskip(SKIP_2) | instid1(VALU_DEP_3)
	v_dual_mul_f32 v100, 0x3ee437d1, v68 :: v_dual_sub_f32 v93, v113, v93
	v_add_f32_e32 v113, v119, v122
	v_mul_f32_e32 v119, 0x3f6eb680, v65
	v_dual_add_f32 v136, v140, v137 :: v_dual_add_f32 v95, v95, v100
	v_add_f32_e32 v99, v99, v101
	s_delay_alu instid0(VALU_DEP_3) | instskip(SKIP_2) | instid1(VALU_DEP_4)
	v_dual_add_f32 v93, v93, v98 :: v_dual_sub_f32 v92, v119, v92
	v_mul_f32_e32 v100, 0x3ee437d1, v67
	v_fmac_f32_e32 v142, 0xbe3c28d5, v90
	v_dual_mul_f32 v98, 0xbf59a7d5, v70 :: v_dual_add_f32 v95, v95, v99
	v_mul_f32_e32 v99, 0xbf59a7d5, v69
	v_dual_add_f32 v92, v92, v93 :: v_dual_mul_f32 v93, 0xbf1a4643, v72
	v_dual_sub_f32 v55, v100, v55 :: v_dual_mul_f32 v100, 0x3f3d2fb0, v73
	s_delay_alu instid0(VALU_DEP_4) | instskip(NEXT) | instid1(VALU_DEP_3)
	v_dual_add_f32 v132, v142, v136 :: v_dual_add_f32 v97, v97, v98
	v_dual_mul_f32 v98, 0xbf1a4643, v71 :: v_dual_add_f32 v93, v94, v93
	s_delay_alu instid0(VALU_DEP_3) | instskip(SKIP_1) | instid1(VALU_DEP_4)
	v_dual_mul_f32 v94, 0xbf1a4643, v73 :: v_dual_add_f32 v55, v55, v92
	v_sub_f32_e32 v53, v99, v53
	v_add_f32_e32 v95, v97, v95
	v_mul_f32_e32 v97, 0xbf65296c, v79
	s_delay_alu instid0(VALU_DEP_4) | instskip(NEXT) | instid1(VALU_DEP_4)
	v_dual_sub_f32 v94, v94, v103 :: v_dual_mul_f32 v103, 0x3f3d2fb0, v74
	v_dual_add_f32 v55, v53, v55 :: v_dual_sub_f32 v52, v98, v52
	s_delay_alu instid0(VALU_DEP_3) | instskip(NEXT) | instid1(VALU_DEP_3)
	v_fmamk_f32 v92, v63, 0x3ee437d1, v97
	v_dual_mul_f32 v98, 0x3f763a35, v86 :: v_dual_add_f32 v91, v91, v103
	v_sub_f32_e32 v54, v100, v54
	s_delay_alu instid0(VALU_DEP_4) | instskip(NEXT) | instid1(VALU_DEP_4)
	v_dual_add_f32 v103, v52, v55 :: v_dual_add_f32 v52, v94, v113
	v_add_f32_e32 v92, v5, v92
	v_mul_f32_e32 v100, 0x3f2c7751, v88
	v_mul_f32_e32 v119, 0xbf7ee86f, v76
	v_dual_add_f32 v6, v6, v28 :: v_dual_mul_f32 v99, 0xbf4c4adb, v85
	v_dual_add_f32 v50, v131, v134 :: v_dual_mul_f32 v101, 0x3e3c28d5, v87
	s_delay_alu instid0(VALU_DEP_2) | instskip(NEXT) | instid1(VALU_DEP_3)
	v_dual_add_f32 v93, v93, v95 :: v_dual_add_f32 v6, v6, v30
	v_fmamk_f32 v95, v61, 0xbf1a4643, v99
	v_mul_f32_e32 v94, 0xbeb8f4ab, v89
	v_add_f32_e32 v114, v121, v125
	s_delay_alu instid0(VALU_DEP_4) | instskip(NEXT) | instid1(VALU_DEP_4)
	v_dual_add_f32 v55, v91, v93 :: v_dual_add_f32 v6, v6, v24
	v_dual_add_f32 v92, v95, v92 :: v_dual_fmamk_f32 v95, v64, 0xbf7ba420, v101
	v_fmamk_f32 v93, v68, 0x3f3d2fb0, v100
	v_mul_f32_e32 v113, 0x3f763a35, v78
	s_delay_alu instid0(VALU_DEP_4) | instskip(SKIP_3) | instid1(VALU_DEP_4)
	v_add_f32_e32 v6, v6, v26
	v_mul_f32_e32 v30, 0xbeb8f4ab, v83
	v_dual_add_f32 v92, v95, v92 :: v_dual_fmamk_f32 v95, v66, 0xbe8c1d8e, v98
	v_mul_f32_e32 v26, 0xbf7ee86f, v80
	v_add_f32_e32 v6, v6, v20
	v_mul_f32_e32 v20, 0xbf4c4adb, v87
	v_fma_f32 v24, 0x3f6eb680, v69, -v30
	v_add_f32_e32 v91, v95, v92
	s_delay_alu instid0(VALU_DEP_4) | instskip(NEXT) | instid1(VALU_DEP_4)
	v_dual_mul_f32 v79, 0xbeb8f4ab, v79 :: v_dual_add_f32 v22, v6, v22
	v_fmamk_f32 v6, v64, 0xbf1a4643, v20
	v_mul_f32_e32 v92, 0xbf65296c, v75
	s_delay_alu instid0(VALU_DEP_4) | instskip(NEXT) | instid1(VALU_DEP_4)
	v_add_f32_e32 v91, v93, v91
	v_dual_mul_f32 v93, 0x3e3c28d5, v77 :: v_dual_add_f32 v16, v22, v16
	v_mul_f32_e32 v87, 0xbf65296c, v87
	s_delay_alu instid0(VALU_DEP_4) | instskip(SKIP_1) | instid1(VALU_DEP_4)
	v_fma_f32 v95, 0x3ee437d1, v59, -v92
	v_add_f32_e32 v51, v144, v132
	v_add_f32_e32 v16, v16, v18
	s_delay_alu instid0(VALU_DEP_3) | instskip(SKIP_2) | instid1(VALU_DEP_4)
	v_dual_add_f32 v32, v4, v95 :: v_dual_fmamk_f32 v95, v70, 0x3f6eb680, v94
	v_add_f32_e32 v53, v114, v124
	v_mul_f32_e32 v114, 0x3f06c442, v88
	v_add_f32_e32 v12, v16, v12
	v_mul_f32_e32 v88, 0xbf763a35, v88
	v_dual_add_f32 v34, v95, v91 :: v_dual_mul_f32 v95, 0x3f2c7751, v84
	v_dual_add_f32 v54, v54, v103 :: v_dual_mul_f32 v103, 0xbf4c4adb, v76
	v_fmamk_f32 v91, v72, 0x3dbcf732, v35
	v_mul_f32_e32 v76, 0xbf2c7751, v76
	s_delay_alu instid0(VALU_DEP_3) | instskip(NEXT) | instid1(VALU_DEP_3)
	v_fma_f32 v33, 0xbf1a4643, v60, -v103
	v_add_f32_e32 v28, v91, v34
	v_mul_f32_e32 v34, 0xbf2c7751, v75
	s_delay_alu instid0(VALU_DEP_4) | instskip(NEXT) | instid1(VALU_DEP_4)
	v_fma_f32 v123, 0x3f3d2fb0, v60, -v76
	v_dual_mul_f32 v75, 0xbeb8f4ab, v75 :: v_dual_add_f32 v32, v33, v32
	v_fma_f32 v33, 0xbf7ba420, v62, -v93
	v_add_f32_e32 v7, v7, v28
	v_fma_f32 v28, 0x3f3d2fb0, v59, -v34
	v_fmac_f32_e32 v103, 0xbf1a4643, v60
	s_delay_alu instid0(VALU_DEP_4) | instskip(SKIP_1) | instid1(VALU_DEP_4)
	v_dual_fmac_f32 v93, 0xbf7ba420, v62 :: v_dual_add_f32 v32, v33, v32
	v_fma_f32 v33, 0xbe8c1d8e, v65, -v113
	v_dual_add_f32 v23, v4, v28 :: v_dual_mul_f32 v28, 0xbf4c4adb, v77
	v_mul_f32_e32 v77, 0xbf65296c, v77
	v_fmac_f32_e32 v113, 0xbe8c1d8e, v65
	s_delay_alu instid0(VALU_DEP_4) | instskip(SKIP_4) | instid1(VALU_DEP_4)
	v_add_f32_e32 v29, v33, v32
	v_fma_f32 v32, 0x3f3d2fb0, v67, -v95
	v_fma_f32 v22, 0xbf1a4643, v62, -v28
	;; [unrolled: 1-line block ×3, first 2 shown]
	v_fmac_f32_e32 v95, 0x3f3d2fb0, v67
	v_add_f32_e32 v29, v32, v29
	v_mul_f32_e32 v32, 0xbf7ee86f, v85
	v_mul_f32_e32 v85, 0xbf2c7751, v85
	v_fmac_f32_e32 v34, 0x3f3d2fb0, v59
	s_delay_alu instid0(VALU_DEP_3) | instskip(NEXT) | instid1(VALU_DEP_3)
	v_dual_add_f32 v24, v24, v29 :: v_dual_fmamk_f32 v29, v61, 0x3dbcf732, v32
	v_fmamk_f32 v121, v61, 0x3f3d2fb0, v85
	s_delay_alu instid0(VALU_DEP_2) | instskip(NEXT) | instid1(VALU_DEP_3)
	v_add_f32_e32 v24, v33, v24
	v_add_f32_e32 v21, v29, v25
	v_mul_f32_e32 v25, 0xbf06c442, v81
	v_mul_f32_e32 v29, 0xbe3c28d5, v86
	s_delay_alu instid0(VALU_DEP_3) | instskip(NEXT) | instid1(VALU_DEP_3)
	v_dual_mul_f32 v86, 0xbf7ee86f, v86 :: v_dual_add_f32 v21, v6, v21
	v_fma_f32 v33, 0xbf59a7d5, v73, -v25
	s_delay_alu instid0(VALU_DEP_3) | instskip(SKIP_2) | instid1(VALU_DEP_4)
	v_fmamk_f32 v91, v66, 0xbf7ba420, v29
	v_fma_f32 v29, 0xbf7ba420, v66, -v29
	v_fmac_f32_e32 v92, 0x3ee437d1, v59
	v_dual_fmac_f32 v25, 0xbf59a7d5, v73 :: v_dual_add_f32 v6, v33, v24
	v_fma_f32 v24, 0x3dbcf732, v60, -v119
	v_add_f32_e32 v21, v91, v21
	v_fmamk_f32 v33, v68, 0xbf59a7d5, v114
	v_dual_mul_f32 v91, 0x3eb8f4ab, v82 :: v_dual_add_f32 v16, v13, v15
	s_delay_alu instid0(VALU_DEP_4) | instskip(SKIP_1) | instid1(VALU_DEP_4)
	v_add_f32_e32 v19, v24, v23
	v_mul_f32_e32 v23, 0xbe3c28d5, v78
	v_add_f32_e32 v21, v33, v21
	v_mul_f32_e32 v33, 0x3f65296c, v90
	s_delay_alu instid0(VALU_DEP_4) | instskip(NEXT) | instid1(VALU_DEP_4)
	v_dual_add_f32 v24, v12, v14 :: v_dual_add_f32 v17, v22, v19
	v_fma_f32 v18, 0xbf7ba420, v65, -v23
	v_mul_f32_e32 v19, 0x3f06c442, v84
	v_mul_f32_e32 v22, 0x3f763a35, v89
	;; [unrolled: 1-line block ×3, first 2 shown]
	s_delay_alu instid0(VALU_DEP_4) | instskip(NEXT) | instid1(VALU_DEP_4)
	v_dual_mul_f32 v78, 0xbf7ee86f, v78 :: v_dual_add_f32 v13, v18, v17
	v_fma_f32 v15, 0xbf59a7d5, v67, -v19
	v_mul_f32_e32 v18, 0x3f763a35, v83
	v_fmamk_f32 v17, v70, 0xbe8c1d8e, v22
	v_mul_f32_e32 v90, 0xbf06c442, v90
	s_delay_alu instid0(VALU_DEP_4) | instskip(NEXT) | instid1(VALU_DEP_4)
	v_dual_mul_f32 v83, 0xbf4c4adb, v83 :: v_dual_add_f32 v12, v15, v13
	v_fma_f32 v13, 0xbe8c1d8e, v69, -v18
	s_delay_alu instid0(VALU_DEP_4) | instskip(SKIP_1) | instid1(VALU_DEP_3)
	v_dual_add_f32 v14, v17, v21 :: v_dual_mul_f32 v21, 0x3f65296c, v80
	v_fmamk_f32 v15, v72, 0x3ee437d1, v33
	v_dual_fmamk_f32 v17, v63, 0x3f6eb680, v79 :: v_dual_add_f32 v12, v13, v12
	v_add_f32_e32 v8, v24, v8
	s_delay_alu instid0(VALU_DEP_4) | instskip(NEXT) | instid1(VALU_DEP_4)
	v_fma_f32 v13, 0x3ee437d1, v71, -v21
	v_dual_add_f32 v14, v15, v14 :: v_dual_fmamk_f32 v15, v74, 0x3f6eb680, v91
	s_delay_alu instid0(VALU_DEP_4) | instskip(NEXT) | instid1(VALU_DEP_3)
	v_add_f32_e32 v17, v5, v17
	v_dual_add_f32 v9, v16, v9 :: v_dual_add_f32 v12, v13, v12
	v_mul_f32_e32 v82, 0xbe3c28d5, v82
	s_delay_alu instid0(VALU_DEP_3)
	v_dual_add_f32 v13, v15, v14 :: v_dual_add_f32 v14, v121, v17
	v_fmamk_f32 v15, v64, 0x3ee437d1, v87
	v_fma_f32 v121, 0x3f6eb680, v59, -v75
	v_add_f32_e32 v9, v9, v11
	v_fmac_f32_e32 v106, 0x3f6eb680, v67
	v_fma_f32 v32, 0x3dbcf732, v61, -v32
	v_dual_add_f32 v14, v15, v14 :: v_dual_fmamk_f32 v15, v66, 0x3dbcf732, v86
	v_add_f32_e32 v121, v4, v121
	v_dual_add_f32 v9, v9, v41 :: v_dual_add_f32 v8, v8, v10
	s_delay_alu instid0(VALU_DEP_3) | instskip(SKIP_1) | instid1(VALU_DEP_4)
	v_dual_add_f32 v31, v32, v31 :: v_dual_add_f32 v14, v15, v14
	v_fmamk_f32 v15, v68, 0xbe8c1d8e, v88
	v_add_f32_e32 v121, v123, v121
	v_fma_f32 v123, 0x3ee437d1, v62, -v77
	v_fma_f32 v20, 0xbf1a4643, v64, -v20
	s_delay_alu instid0(VALU_DEP_4) | instskip(SKIP_2) | instid1(VALU_DEP_4)
	v_dual_fmac_f32 v119, 0x3dbcf732, v60 :: v_dual_add_f32 v14, v15, v14
	v_fmamk_f32 v15, v70, 0xbf1a4643, v89
	v_fmac_f32_e32 v75, 0x3f6eb680, v59
	v_add_f32_e32 v20, v20, v31
	v_fmac_f32_e32 v28, 0xbf1a4643, v62
	v_add_f32_e32 v8, v8, v40
	v_add_f32_e32 v14, v15, v14
	v_fma_f32 v15, 0xbf59a7d5, v63, -v104
	v_add_f32_e32 v20, v29, v20
	v_fma_f32 v29, 0xbf59a7d5, v68, -v114
	v_fmac_f32_e32 v18, 0xbe8c1d8e, v69
	v_fmac_f32_e32 v21, 0x3ee437d1, v71
	v_dual_add_f32 v15, v5, v15 :: v_dual_mul_f32 v122, 0x3eb8f4ab, v81
	s_delay_alu instid0(VALU_DEP_4) | instskip(SKIP_1) | instid1(VALU_DEP_3)
	v_dual_mul_f32 v81, 0xbe3c28d5, v81 :: v_dual_add_f32 v20, v29, v20
	v_fma_f32 v22, 0xbe8c1d8e, v70, -v22
	v_add_f32_e32 v15, v109, v15
	s_delay_alu instid0(VALU_DEP_4)
	v_fma_f32 v17, 0x3f6eb680, v73, -v122
	v_fma_f32 v109, 0x3dbcf732, v64, -v118
	v_mul_f32_e32 v84, 0xbf763a35, v84
	v_add_f32_e32 v20, v22, v20
	v_fma_f32 v22, 0x3ee437d1, v72, -v33
	v_fmac_f32_e32 v77, 0x3ee437d1, v62
	v_add_f32_e32 v15, v109, v15
	v_add_f32_e32 v109, v117, v116
	v_dual_add_f32 v12, v17, v12 :: v_dual_add_f32 v17, v123, v121
	v_fma_f32 v121, 0x3dbcf732, v65, -v78
	v_fma_f32 v104, 0xbe8c1d8e, v67, -v84
	v_dual_mul_f32 v80, 0xbf06c442, v80 :: v_dual_add_f32 v115, v115, v15
	v_fma_f32 v116, 0xbf7ba420, v73, -v81
	s_delay_alu instid0(VALU_DEP_4) | instskip(SKIP_3) | instid1(VALU_DEP_4)
	v_add_f32_e32 v17, v121, v17
	v_dual_fmamk_f32 v121, v72, 0xbf59a7d5, v90 :: v_dual_add_f32 v20, v22, v20
	v_fma_f32 v22, 0x3f6eb680, v63, -v79
	v_add_f32_e32 v24, v4, v92
	v_add_f32_e32 v17, v104, v17
	v_fma_f32 v104, 0xbf1a4643, v69, -v83
	v_add_f32_e32 v14, v121, v14
	v_fmac_f32_e32 v30, 0x3f6eb680, v69
	v_fmac_f32_e32 v23, 0xbf7ba420, v65
	v_fmac_f32_e32 v19, 0xbf59a7d5, v67
	v_add_f32_e32 v17, v104, v17
	v_fma_f32 v104, 0xbf59a7d5, v71, -v80
	v_fmac_f32_e32 v76, 0x3f3d2fb0, v60
	v_fmac_f32_e32 v78, 0x3dbcf732, v65
	;; [unrolled: 1-line block ×3, first 2 shown]
	s_delay_alu instid0(VALU_DEP_4) | instskip(SKIP_3) | instid1(VALU_DEP_3)
	v_dual_fmac_f32 v84, 0xbe8c1d8e, v67 :: v_dual_add_f32 v17, v104, v17
	v_fmamk_f32 v104, v74, 0xbf7ba420, v82
	v_fmac_f32_e32 v80, 0xbf59a7d5, v71
	v_fmac_f32_e32 v81, 0xbf7ba420, v73
	v_dual_fmac_f32 v122, 0x3f6eb680, v73 :: v_dual_add_f32 v15, v104, v14
	v_add_f32_e32 v14, v116, v17
	v_fma_f32 v17, 0xbf7ba420, v70, -v111
	v_fmac_f32_e32 v108, 0x3dbcf732, v62
	s_delay_alu instid0(VALU_DEP_1) | instskip(SKIP_1) | instid1(VALU_DEP_2)
	v_add_f32_e32 v108, v108, v109
	v_fma_f32 v109, 0x3f6eb680, v68, -v110
	v_add_f32_e32 v104, v105, v108
	s_delay_alu instid0(VALU_DEP_2) | instskip(NEXT) | instid1(VALU_DEP_1)
	v_add_f32_e32 v16, v109, v115
	v_add_f32_e32 v11, v17, v16
	v_fma_f32 v16, 0x3f3d2fb0, v72, -v112
	s_delay_alu instid0(VALU_DEP_1) | instskip(NEXT) | instid1(VALU_DEP_1)
	v_dual_add_f32 v17, v106, v104 :: v_dual_add_f32 v10, v16, v11
	v_add_f32_e32 v16, v107, v17
	v_fma_f32 v11, 0xbe8c1d8e, v74, -v120
	v_fma_f32 v17, 0x3ee437d1, v63, -v97
	s_delay_alu instid0(VALU_DEP_2) | instskip(NEXT) | instid1(VALU_DEP_2)
	v_dual_add_f32 v11, v11, v10 :: v_dual_add_f32 v10, v102, v16
	v_add_f32_e32 v16, v5, v17
	v_fma_f32 v17, 0xbf1a4643, v61, -v99
	v_add_f32_e32 v5, v5, v22
	v_fma_f32 v22, 0x3f3d2fb0, v61, -v85
	v_add_f32_e32 v24, v103, v24
	s_delay_alu instid0(VALU_DEP_4) | instskip(SKIP_1) | instid1(VALU_DEP_3)
	v_add_f32_e32 v16, v17, v16
	v_fma_f32 v17, 0xbf7ba420, v64, -v101
	v_dual_add_f32 v5, v22, v5 :: v_dual_add_f32 v24, v93, v24
	v_fma_f32 v22, 0x3ee437d1, v64, -v87
	s_delay_alu instid0(VALU_DEP_3) | instskip(SKIP_1) | instid1(VALU_DEP_3)
	v_add_f32_e32 v16, v17, v16
	v_fma_f32 v17, 0xbe8c1d8e, v66, -v98
	v_dual_add_f32 v24, v113, v24 :: v_dual_add_f32 v5, v22, v5
	v_fma_f32 v22, 0x3dbcf732, v66, -v86
	s_delay_alu instid0(VALU_DEP_3) | instskip(SKIP_1) | instid1(VALU_DEP_3)
	v_add_f32_e32 v16, v17, v16
	v_fma_f32 v17, 0x3f3d2fb0, v68, -v100
	v_dual_add_f32 v24, v95, v24 :: v_dual_add_f32 v5, v22, v5
	v_fma_f32 v22, 0xbe8c1d8e, v68, -v88
	s_delay_alu instid0(VALU_DEP_3) | instskip(SKIP_1) | instid1(VALU_DEP_4)
	v_add_f32_e32 v16, v17, v16
	v_fma_f32 v17, 0x3f6eb680, v70, -v94
	v_add_f32_e32 v24, v30, v24
	s_delay_alu instid0(VALU_DEP_4) | instskip(SKIP_4) | instid1(VALU_DEP_4)
	v_add_f32_e32 v5, v22, v5
	v_fma_f32 v22, 0xbf1a4643, v70, -v89
	v_fmac_f32_e32 v26, 0x3dbcf732, v71
	v_add_f32_e32 v16, v17, v16
	v_fma_f32 v17, 0x3dbcf732, v72, -v35
	v_add_f32_e32 v5, v22, v5
	s_delay_alu instid0(VALU_DEP_4) | instskip(NEXT) | instid1(VALU_DEP_3)
	v_add_f32_e32 v24, v26, v24
	v_add_f32_e32 v16, v17, v16
	v_fma_f32 v17, 0xbf59a7d5, v74, -v27
	s_delay_alu instid0(VALU_DEP_1) | instskip(NEXT) | instid1(VALU_DEP_4)
	v_add_f32_e32 v17, v17, v16
	v_dual_add_f32 v16, v25, v24 :: v_dual_add_f32 v25, v4, v34
	v_add_f32_e32 v4, v4, v75
	v_fma_f32 v24, 0x3f6eb680, v74, -v91
	s_delay_alu instid0(VALU_DEP_2) | instskip(NEXT) | instid1(VALU_DEP_1)
	v_dual_add_f32 v25, v119, v25 :: v_dual_add_f32 v4, v76, v4
	v_dual_add_f32 v25, v28, v25 :: v_dual_add_f32 v4, v77, v4
	s_delay_alu instid0(VALU_DEP_1) | instskip(NEXT) | instid1(VALU_DEP_1)
	v_dual_add_f32 v23, v23, v25 :: v_dual_add_f32 v4, v78, v4
	v_dual_fmac_f32 v96, 0xbe8c1d8e, v73 :: v_dual_add_f32 v19, v19, v23
	s_delay_alu instid0(VALU_DEP_2) | instskip(SKIP_1) | instid1(VALU_DEP_3)
	v_add_f32_e32 v4, v84, v4
	v_lshl_add_u32 v23, v36, 7, v56
	v_add_f32_e32 v10, v96, v10
	s_delay_alu instid0(VALU_DEP_4) | instskip(SKIP_2) | instid1(VALU_DEP_2)
	v_add_f32_e32 v18, v18, v19
	v_fma_f32 v19, 0xbf59a7d5, v72, -v90
	v_add_f32_e32 v4, v83, v4
	v_dual_add_f32 v18, v21, v18 :: v_dual_add_f32 v19, v19, v5
	v_fma_f32 v21, 0xbf7ba420, v74, -v82
	s_delay_alu instid0(VALU_DEP_3) | instskip(NEXT) | instid1(VALU_DEP_3)
	v_add_f32_e32 v22, v80, v4
	v_dual_add_f32 v5, v24, v20 :: v_dual_add_f32 v4, v122, v18
	s_delay_alu instid0(VALU_DEP_3) | instskip(NEXT) | instid1(VALU_DEP_3)
	v_add_f32_e32 v19, v21, v19
	v_add_f32_e32 v18, v81, v22
	ds_store_2addr_b64 v23, v[8:9], v[14:15] offset1:1
	ds_store_2addr_b64 v23, v[12:13], v[6:7] offset0:2 offset1:3
	ds_store_2addr_b64 v23, v[54:55], v[52:53] offset0:4 offset1:5
	;; [unrolled: 1-line block ×7, first 2 shown]
	ds_store_b64 v23, v[18:19] offset:128
.LBB0_19:
	s_wait_alu 0xfffe
	s_or_b32 exec_lo, exec_lo, s1
	v_and_b32_e32 v4, 0xff, v36
	v_add_nc_u32_e32 v5, 0xee, v36
	v_add_nc_u16 v28, v36, 0x77
	v_add_nc_u32_e32 v6, 0x165, v36
	v_add_nc_u32_e32 v7, 0x1dc, v36
	v_mul_lo_u16 v30, 0xf1, v4
	v_and_b32_e32 v9, 0xffff, v5
	v_and_b32_e32 v4, 0xff, v28
	;; [unrolled: 1-line block ×4, first 2 shown]
	v_lshrrev_b16 v12, 12, v30
	global_wb scope:SCOPE_SE
	s_wait_dscnt 0x0
	v_mul_lo_u16 v29, 0xf1, v4
	v_mul_u32_u24_e32 v4, 0xf0f1, v9
	v_mul_u32_u24_e32 v10, 0xf0f1, v10
	v_mul_lo_u16 v11, v12, 17
	s_barrier_signal -1
	v_lshrrev_b16 v35, 12, v29
	v_lshrrev_b32_e32 v48, 20, v4
	v_lshrrev_b32_e32 v49, 20, v10
	v_sub_nc_u16 v9, v36, v11
	v_mul_u32_u24_e32 v11, 0xf0f1, v13
	v_mul_lo_u16 v10, v35, 17
	v_mul_lo_u16 v13, v48, 17
	s_barrier_wait -1
	v_and_b32_e32 v4, 0xff, v9
	global_inv scope:SCOPE_SE
	v_lshrrev_b32_e32 v51, 20, v11
	v_sub_nc_u16 v5, v5, v13
	v_and_b32_e32 v35, 0xffff, v35
	v_lshlrev_b32_e32 v50, 3, v4
	v_sub_nc_u16 v4, v28, v10
	v_mul_lo_u16 v10, v51, 17
	v_and_b32_e32 v5, 0xffff, v5
	v_mul_u32_u24_e32 v35, 0x110, v35
	global_load_b64 v[31:32], v50, s[4:5]
	v_and_b32_e32 v4, 0xff, v4
	v_sub_nc_u16 v7, v7, v10
	v_lshlrev_b32_e32 v54, 3, v5
	v_and_b32_e32 v61, 0xffff, v12
	v_mul_u32_u24_e32 v48, 0x110, v48
	v_lshlrev_b32_e32 v53, 3, v4
	v_mul_u32_u24_e32 v51, 0x110, v51
	v_cmp_gt_u32_e64 s0, 0x55, v36
	global_load_b64 v[40:41], v54, s[4:5]
	v_and_b32_e32 v4, 0xffff, v7
	global_load_b64 v[33:34], v53, s[4:5]
	v_add_nc_u32_e32 v8, 0x253, v36
	v_add3_u32 v35, 0, v35, v53
	v_lshlrev_b32_e32 v59, 3, v4
	s_delay_alu instid0(VALU_DEP_3) | instskip(NEXT) | instid1(VALU_DEP_2)
	v_and_b32_e32 v14, 0xffff, v8
	v_add3_u32 v51, 0, v51, v59
	s_delay_alu instid0(VALU_DEP_2) | instskip(NEXT) | instid1(VALU_DEP_1)
	v_mul_u32_u24_e32 v9, 0xf0f1, v14
	v_lshrrev_b32_e32 v52, 20, v9
	v_mul_lo_u16 v9, v49, 17
	v_mul_u32_u24_e32 v49, 0x110, v49
	s_delay_alu instid0(VALU_DEP_3) | instskip(NEXT) | instid1(VALU_DEP_3)
	v_mul_lo_u16 v11, v52, 17
	v_sub_nc_u16 v6, v6, v9
	v_mul_u32_u24_e32 v52, 0x110, v52
	s_delay_alu instid0(VALU_DEP_3) | instskip(NEXT) | instid1(VALU_DEP_3)
	v_sub_nc_u16 v8, v8, v11
	v_and_b32_e32 v6, 0xffff, v6
	s_delay_alu instid0(VALU_DEP_2) | instskip(NEXT) | instid1(VALU_DEP_2)
	v_and_b32_e32 v5, 0xffff, v8
	v_lshlrev_b32_e32 v55, 3, v6
	s_delay_alu instid0(VALU_DEP_2)
	v_lshlrev_b32_e32 v60, 3, v5
	s_clause 0x2
	global_load_b64 v[42:43], v55, s[4:5]
	global_load_b64 v[44:45], v59, s[4:5]
	;; [unrolled: 1-line block ×3, first 2 shown]
	v_add_nc_u32_e32 v8, 0x1400, v56
	v_add_nc_u32_e32 v20, 0x400, v56
	ds_load_2addr_b64 v[4:7], v56 offset1:119
	ds_load_2addr_b64 v[8:11], v8 offset0:74 offset1:193
	s_wait_loadcnt_dscnt 0x500
	v_mul_f32_e32 v53, v32, v9
	v_mul_f32_e32 v32, v32, v8
	s_delay_alu instid0(VALU_DEP_2) | instskip(SKIP_1) | instid1(VALU_DEP_2)
	v_fma_f32 v8, v31, v8, -v53
	s_wait_loadcnt 0x3
	v_dual_fmac_f32 v32, v31, v9 :: v_dual_mul_f32 v31, v34, v10
	v_mul_f32_e32 v9, v34, v11
	s_delay_alu instid0(VALU_DEP_2)
	v_dual_fmac_f32 v31, v33, v11 :: v_dual_add_nc_u32 v24, 0x2400, v56
	ds_load_2addr_b64 v[12:15], v58 offset0:56 offset1:175
	ds_load_2addr_b64 v[16:19], v37 offset0:92 offset1:211
	;; [unrolled: 1-line block ×4, first 2 shown]
	v_fma_f32 v9, v33, v10, -v9
	v_mul_u32_u24_e32 v58, 0x110, v61
	global_wb scope:SCOPE_SE
	s_wait_loadcnt_dscnt 0x0
	s_barrier_signal -1
	s_barrier_wait -1
	global_inv scope:SCOPE_SE
	v_mul_f32_e32 v34, v41, v13
	v_mul_f32_e32 v41, v41, v12
	s_delay_alu instid0(VALU_DEP_2) | instskip(SKIP_1) | instid1(VALU_DEP_3)
	v_fma_f32 v10, v40, v12, -v34
	v_sub_f32_e32 v12, v4, v8
	v_fmac_f32_e32 v41, v40, v13
	v_sub_f32_e32 v13, v5, v32
	v_add3_u32 v52, 0, v52, v60
	v_mul_f32_e32 v53, v43, v15
	s_delay_alu instid0(VALU_DEP_4) | instskip(NEXT) | instid1(VALU_DEP_2)
	v_dual_mul_f32 v43, v43, v14 :: v_dual_sub_f32 v32, v21, v41
	v_fma_f32 v11, v42, v14, -v53
	s_delay_alu instid0(VALU_DEP_2)
	v_fmac_f32_e32 v43, v42, v15
	v_add3_u32 v48, 0, v48, v54
	v_mul_f32_e32 v54, v45, v25
	v_mul_f32_e32 v45, v45, v24
	v_fma_f32 v14, v4, 2.0, -v12
	v_sub_f32_e32 v4, v22, v11
	v_add3_u32 v49, 0, v49, v55
	v_mul_f32_e32 v55, v27, v47
	v_mul_f32_e32 v47, v26, v47
	v_fma_f32 v24, v44, v24, -v54
	v_fmac_f32_e32 v45, v44, v25
	v_fma_f32 v15, v5, 2.0, -v13
	v_fma_f32 v8, v26, v46, -v55
	v_fmac_f32_e32 v47, v27, v46
	v_dual_sub_f32 v27, v7, v31 :: v_dual_sub_f32 v26, v6, v9
	s_delay_alu instid0(VALU_DEP_3)
	v_dual_sub_f32 v31, v20, v10 :: v_dual_sub_f32 v10, v18, v8
	v_dual_sub_f32 v5, v23, v43 :: v_dual_sub_f32 v24, v16, v24
	v_sub_f32_e32 v25, v17, v45
	v_add3_u32 v50, 0, v58, v50
	v_sub_f32_e32 v11, v19, v47
	v_fma_f32 v33, v6, 2.0, -v26
	v_fma_f32 v34, v7, 2.0, -v27
	;; [unrolled: 1-line block ×10, first 2 shown]
	ds_store_2addr_b64 v50, v[14:15], v[12:13] offset1:17
	ds_store_2addr_b64 v35, v[33:34], v[26:27] offset1:17
	;; [unrolled: 1-line block ×6, first 2 shown]
	global_wb scope:SCOPE_SE
	s_wait_dscnt 0x0
	s_barrier_signal -1
	s_barrier_wait -1
	global_inv scope:SCOPE_SE
	ds_load_2addr_b64 v[12:15], v56 offset1:204
	ds_load_2addr_b64 v[20:23], v37 offset0:24 offset1:228
	ds_load_2addr_b64 v[16:19], v57 offset0:48 offset1:252
	ds_load_b64 v[26:27], v56 offset:9792
	s_and_saveexec_b32 s1, s0
	s_cbranch_execz .LBB0_21
; %bb.20:
	v_add_nc_u32_e32 v0, 0x300, v56
	v_add_nc_u32_e32 v1, 0x1000, v56
	;; [unrolled: 1-line block ×4, first 2 shown]
	ds_load_2addr_b64 v[4:7], v0 offset0:23 offset1:227
	ds_load_2addr_b32 v[24:25], v1 offset0:30 offset1:31
	ds_load_2addr_b64 v[8:11], v2 offset0:27 offset1:231
	ds_load_2addr_b64 v[0:3], v3 offset0:51 offset1:255
.LBB0_21:
	s_wait_alu 0xfffe
	s_or_b32 exec_lo, exec_lo, s1
	v_lshrrev_b16 v34, 13, v30
	s_delay_alu instid0(VALU_DEP_1) | instskip(NEXT) | instid1(VALU_DEP_1)
	v_mul_lo_u16 v30, v34, 34
	v_sub_nc_u16 v30, v36, v30
	s_delay_alu instid0(VALU_DEP_1) | instskip(NEXT) | instid1(VALU_DEP_1)
	v_and_b32_e32 v35, 0xff, v30
	v_mul_u32_u24_e32 v30, 6, v35
	s_delay_alu instid0(VALU_DEP_1)
	v_lshlrev_b32_e32 v37, 3, v30
	s_clause 0x2
	global_load_b128 v[30:33], v37, s[4:5] offset:136
	global_load_b128 v[40:43], v37, s[4:5] offset:152
	;; [unrolled: 1-line block ×3, first 2 shown]
	v_and_b32_e32 v34, 0xffff, v34
	global_wb scope:SCOPE_SE
	s_wait_loadcnt_dscnt 0x0
	s_barrier_signal -1
	s_barrier_wait -1
	global_inv scope:SCOPE_SE
	v_mul_u32_u24_e32 v34, 0x770, v34
	v_mul_f32_e32 v49, v43, v17
	v_dual_mul_f32 v43, v43, v16 :: v_dual_mul_f32 v50, v45, v19
	v_mul_f32_e32 v51, v47, v27
	v_mul_f32_e32 v48, v41, v23
	s_delay_alu instid0(VALU_DEP_4)
	v_fma_f32 v16, v42, v16, -v49
	v_mul_f32_e32 v37, v33, v21
	v_fmac_f32_e32 v43, v42, v17
	v_fma_f32 v17, v44, v18, -v50
	v_mul_f32_e32 v33, v33, v20
	v_mul_f32_e32 v45, v45, v18
	s_delay_alu instid0(VALU_DEP_2) | instskip(SKIP_2) | instid1(VALU_DEP_1)
	v_fmac_f32_e32 v33, v32, v21
	v_fma_f32 v21, v46, v26, -v51
	v_lshlrev_b32_e32 v35, 3, v35
	v_add3_u32 v34, 0, v34, v35
	v_mul_f32_e32 v35, v31, v15
	v_mul_f32_e32 v31, v31, v14
	s_delay_alu instid0(VALU_DEP_2) | instskip(NEXT) | instid1(VALU_DEP_1)
	v_fma_f32 v14, v30, v14, -v35
	v_add_f32_e32 v18, v14, v21
	v_sub_f32_e32 v14, v14, v21
	s_delay_alu instid0(VALU_DEP_4) | instskip(SKIP_2) | instid1(VALU_DEP_2)
	v_fmac_f32_e32 v31, v30, v15
	v_fma_f32 v15, v32, v20, -v37
	v_fma_f32 v20, v40, v22, -v48
	v_dual_mul_f32 v41, v41, v22 :: v_dual_add_f32 v22, v15, v17
	v_sub_f32_e32 v15, v15, v17
	s_delay_alu instid0(VALU_DEP_3) | instskip(SKIP_1) | instid1(VALU_DEP_4)
	v_dual_mul_f32 v47, v47, v26 :: v_dual_add_f32 v26, v20, v16
	v_sub_f32_e32 v16, v16, v20
	v_dual_fmac_f32 v41, v40, v23 :: v_dual_add_f32 v30, v22, v18
	v_sub_f32_e32 v32, v22, v18
	s_delay_alu instid0(VALU_DEP_3) | instskip(SKIP_3) | instid1(VALU_DEP_4)
	v_dual_sub_f32 v18, v18, v26 :: v_dual_add_f32 v35, v16, v15
	v_sub_f32_e32 v40, v16, v15
	v_fmac_f32_e32 v47, v46, v27
	v_sub_f32_e32 v16, v14, v16
	v_mul_f32_e32 v18, 0x3f4a47b2, v18
	v_dual_sub_f32 v20, v43, v41 :: v_dual_fmac_f32 v45, v44, v19
	v_sub_f32_e32 v22, v26, v22
	v_add_f32_e32 v26, v26, v30
	v_sub_f32_e32 v15, v15, v14
	v_add_f32_e32 v14, v35, v14
	v_sub_f32_e32 v21, v31, v47
	v_mul_f32_e32 v35, 0xbf08b237, v40
	v_dual_add_f32 v12, v26, v12 :: v_dual_sub_f32 v17, v33, v45
	v_dual_add_f32 v27, v41, v43 :: v_dual_mul_f32 v30, 0x3d64c772, v22
	v_dual_add_f32 v23, v33, v45 :: v_dual_mul_f32 v40, 0x3f5ff5aa, v15
	s_delay_alu instid0(VALU_DEP_3)
	v_add_f32_e32 v37, v20, v17
	v_dual_sub_f32 v41, v20, v17 :: v_dual_sub_f32 v20, v21, v20
	v_dual_add_f32 v19, v31, v47 :: v_dual_fmamk_f32 v22, v22, 0x3d64c772, v18
	v_fma_f32 v30, 0x3f3bfb3b, v32, -v30
	v_fma_f32 v18, 0xbf3bfb3b, v32, -v18
	v_fmamk_f32 v32, v16, 0x3eae86e6, v35
	v_fma_f32 v35, 0x3f5ff5aa, v15, -v35
	v_fmamk_f32 v15, v26, 0xbf955555, v12
	v_sub_f32_e32 v17, v17, v21
	v_fma_f32 v40, 0xbeae86e6, v16, -v40
	v_dual_add_f32 v31, v23, v19 :: v_dual_fmac_f32 v32, 0x3ee1c552, v14
	s_delay_alu instid0(VALU_DEP_4) | instskip(NEXT) | instid1(VALU_DEP_3)
	v_dual_add_f32 v26, v22, v15 :: v_dual_add_f32 v21, v37, v21
	v_fmac_f32_e32 v40, 0x3ee1c552, v14
	v_dual_mul_f32 v37, 0xbf08b237, v41 :: v_dual_add_f32 v22, v18, v15
	v_mul_f32_e32 v41, 0x3f5ff5aa, v17
	v_fmac_f32_e32 v35, 0x3ee1c552, v14
	s_delay_alu instid0(VALU_DEP_2) | instskip(NEXT) | instid1(VALU_DEP_1)
	v_fma_f32 v41, 0xbeae86e6, v20, -v41
	v_fmac_f32_e32 v41, 0x3ee1c552, v21
	v_sub_f32_e32 v33, v23, v19
	v_sub_f32_e32 v19, v19, v27
	;; [unrolled: 1-line block ×3, first 2 shown]
	v_add_f32_e32 v27, v27, v31
	s_delay_alu instid0(VALU_DEP_3) | instskip(NEXT) | instid1(VALU_DEP_3)
	v_mul_f32_e32 v19, 0x3f4a47b2, v19
	v_mul_f32_e32 v31, 0x3d64c772, v23
	s_delay_alu instid0(VALU_DEP_3) | instskip(NEXT) | instid1(VALU_DEP_3)
	v_add_f32_e32 v13, v27, v13
	v_fmamk_f32 v23, v23, 0x3d64c772, v19
	s_delay_alu instid0(VALU_DEP_3) | instskip(SKIP_4) | instid1(VALU_DEP_3)
	v_fma_f32 v31, 0x3f3bfb3b, v33, -v31
	v_fma_f32 v19, 0xbf3bfb3b, v33, -v19
	v_fmamk_f32 v33, v20, 0x3eae86e6, v37
	v_fmamk_f32 v16, v27, 0xbf955555, v13
	v_fma_f32 v37, 0x3f5ff5aa, v17, -v37
	v_dual_add_f32 v20, v30, v15 :: v_dual_fmac_f32 v33, 0x3ee1c552, v21
	s_delay_alu instid0(VALU_DEP_3) | instskip(NEXT) | instid1(VALU_DEP_3)
	v_add_f32_e32 v27, v23, v16
	v_fmac_f32_e32 v37, 0x3ee1c552, v21
	v_add_f32_e32 v23, v19, v16
	s_delay_alu instid0(VALU_DEP_4) | instskip(NEXT) | instid1(VALU_DEP_4)
	v_dual_add_f32 v21, v31, v16 :: v_dual_add_f32 v14, v33, v26
	v_dual_sub_f32 v26, v26, v33 :: v_dual_sub_f32 v15, v27, v32
	s_delay_alu instid0(VALU_DEP_3) | instskip(SKIP_1) | instid1(VALU_DEP_4)
	v_dual_add_f32 v16, v41, v22 :: v_dual_sub_f32 v17, v23, v40
	v_sub_f32_e32 v18, v20, v37
	v_dual_add_f32 v19, v35, v21 :: v_dual_add_f32 v20, v37, v20
	v_dual_sub_f32 v21, v21, v35 :: v_dual_sub_f32 v22, v22, v41
	v_add_f32_e32 v23, v40, v23
	v_add_f32_e32 v27, v32, v27
	ds_store_2addr_b64 v34, v[12:13], v[14:15] offset1:34
	ds_store_2addr_b64 v34, v[16:17], v[18:19] offset0:68 offset1:102
	ds_store_2addr_b64 v34, v[20:21], v[22:23] offset0:136 offset1:170
	ds_store_b64 v34, v[26:27] offset:1632
	s_and_saveexec_b32 s1, s0
	s_cbranch_execz .LBB0_23
; %bb.22:
	v_lshrrev_b16 v26, 13, v29
	s_delay_alu instid0(VALU_DEP_1) | instskip(NEXT) | instid1(VALU_DEP_1)
	v_mul_lo_u16 v12, v26, 34
	v_sub_nc_u16 v12, v28, v12
	s_delay_alu instid0(VALU_DEP_1) | instskip(NEXT) | instid1(VALU_DEP_1)
	v_and_b32_e32 v27, 0xff, v12
	v_mul_u32_u24_e32 v12, 6, v27
	s_delay_alu instid0(VALU_DEP_1)
	v_lshlrev_b32_e32 v20, 3, v12
	s_clause 0x2
	global_load_b128 v[12:15], v20, s[4:5] offset:136
	global_load_b128 v[16:19], v20, s[4:5] offset:168
	;; [unrolled: 1-line block ×3, first 2 shown]
	v_and_b32_e32 v26, 0xffff, v26
	s_wait_loadcnt 0x1
	v_mul_f32_e32 v28, v3, v19
	s_wait_loadcnt 0x0
	v_mul_f32_e32 v29, v11, v23
	v_mul_u32_u24_e32 v26, 0x770, v26
	v_dual_mul_f32 v30, v9, v21 :: v_dual_lshlrev_b32 v27, 3, v27
	v_dual_mul_f32 v32, v1, v17 :: v_dual_mul_f32 v19, v2, v19
	v_fma_f32 v2, v2, v18, -v28
	s_delay_alu instid0(VALU_DEP_3)
	v_add3_u32 v26, 0, v26, v27
	v_mul_f32_e32 v27, v7, v13
	v_mul_f32_e32 v21, v8, v21
	v_fma_f32 v8, v8, v20, -v30
	v_fmac_f32_e32 v19, v3, v18
	v_mul_f32_e32 v17, v0, v17
	v_fma_f32 v0, v0, v16, -v32
	v_mul_f32_e32 v23, v10, v23
	v_fma_f32 v10, v10, v22, -v29
	;; [unrolled: 2-line block ×3, first 2 shown]
	v_fmac_f32_e32 v17, v1, v16
	v_mul_f32_e32 v31, v25, v15
	s_delay_alu instid0(VALU_DEP_3) | instskip(SKIP_3) | instid1(VALU_DEP_2)
	v_sub_f32_e32 v1, v6, v2
	v_dual_add_f32 v2, v6, v2 :: v_dual_fmac_f32 v21, v9, v20
	v_mul_f32_e32 v15, v24, v15
	v_dual_add_f32 v6, v8, v10 :: v_dual_fmac_f32 v13, v7, v12
	v_fmac_f32_e32 v15, v25, v14
	s_delay_alu instid0(VALU_DEP_1) | instskip(SKIP_1) | instid1(VALU_DEP_1)
	v_add_f32_e32 v12, v15, v17
	v_fma_f32 v24, v24, v14, -v31
	v_sub_f32_e32 v7, v24, v0
	v_add_f32_e32 v0, v24, v0
	v_sub_f32_e32 v3, v10, v8
	s_delay_alu instid0(VALU_DEP_2) | instskip(NEXT) | instid1(VALU_DEP_2)
	v_dual_fmac_f32 v23, v11, v22 :: v_dual_sub_f32 v20, v6, v0
	v_sub_f32_e32 v14, v1, v3
	v_add_f32_e32 v9, v13, v19
	s_delay_alu instid0(VALU_DEP_1) | instskip(SKIP_1) | instid1(VALU_DEP_2)
	v_dual_add_f32 v18, v12, v9 :: v_dual_add_f32 v11, v21, v23
	v_dual_sub_f32 v10, v23, v21 :: v_dual_add_f32 v21, v0, v2
	v_sub_f32_e32 v16, v9, v11
	v_dual_sub_f32 v8, v13, v19 :: v_dual_sub_f32 v19, v2, v6
	v_sub_f32_e32 v2, v0, v2
	s_delay_alu instid0(VALU_DEP_4) | instskip(SKIP_1) | instid1(VALU_DEP_4)
	v_add_f32_e32 v6, v6, v21
	v_sub_f32_e32 v9, v12, v9
	v_dual_sub_f32 v22, v8, v10 :: v_dual_sub_f32 v13, v15, v17
	v_sub_f32_e32 v15, v3, v7
	s_delay_alu instid0(VALU_DEP_4) | instskip(NEXT) | instid1(VALU_DEP_3)
	v_dual_sub_f32 v17, v11, v12 :: v_dual_add_f32 v0, v4, v6
	v_sub_f32_e32 v23, v10, v13
	v_add_f32_e32 v10, v10, v13
	s_delay_alu instid0(VALU_DEP_4) | instskip(SKIP_2) | instid1(VALU_DEP_4)
	v_dual_sub_f32 v12, v13, v8 :: v_dual_mul_f32 v13, 0xbf08b237, v15
	v_mul_f32_e32 v15, 0x3f4a47b2, v16
	v_dual_mul_f32 v16, 0x3d64c772, v17 :: v_dual_add_f32 v3, v3, v7
	v_add_f32_e32 v8, v10, v8
	s_delay_alu instid0(VALU_DEP_4) | instskip(SKIP_1) | instid1(VALU_DEP_4)
	v_dual_fmamk_f32 v24, v14, 0x3eae86e6, v13 :: v_dual_add_f32 v11, v11, v18
	v_mul_f32_e32 v21, 0xbf08b237, v23
	v_add_f32_e32 v3, v3, v1
	v_dual_sub_f32 v7, v7, v1 :: v_dual_fmamk_f32 v6, v6, 0xbf955555, v0
	s_delay_alu instid0(VALU_DEP_4) | instskip(NEXT) | instid1(VALU_DEP_3)
	v_add_f32_e32 v1, v5, v11
	v_fmac_f32_e32 v24, 0x3ee1c552, v3
	v_mul_f32_e32 v18, 0x3f4a47b2, v19
	v_mul_f32_e32 v19, 0x3d64c772, v20
	s_delay_alu instid0(VALU_DEP_2) | instskip(SKIP_2) | instid1(VALU_DEP_2)
	v_fmamk_f32 v5, v20, 0x3d64c772, v18
	v_fmamk_f32 v20, v22, 0x3eae86e6, v21
	v_mul_f32_e32 v10, 0x3f5ff5aa, v7
	v_fmac_f32_e32 v20, 0x3ee1c552, v8
	s_delay_alu instid0(VALU_DEP_2) | instskip(SKIP_2) | instid1(VALU_DEP_3)
	v_fma_f32 v10, 0xbeae86e6, v14, -v10
	v_fma_f32 v14, 0xbf3bfb3b, v2, -v18
	;; [unrolled: 1-line block ×3, first 2 shown]
	v_fmac_f32_e32 v10, 0x3ee1c552, v3
	v_fma_f32 v4, 0xbf3bfb3b, v9, -v15
	v_fma_f32 v9, 0x3f3bfb3b, v9, -v16
	;; [unrolled: 1-line block ×3, first 2 shown]
	v_dual_add_f32 v14, v14, v6 :: v_dual_mul_f32 v23, 0x3f5ff5aa, v12
	v_fmamk_f32 v17, v17, 0x3d64c772, v15
	v_fma_f32 v13, 0x3f5ff5aa, v7, -v13
	s_delay_alu instid0(VALU_DEP_4) | instskip(SKIP_4) | instid1(VALU_DEP_2)
	v_fmac_f32_e32 v16, 0x3ee1c552, v8
	v_add_f32_e32 v2, v2, v6
	v_fma_f32 v15, 0xbeae86e6, v22, -v23
	v_fmamk_f32 v7, v11, 0xbf955555, v1
	v_fmac_f32_e32 v13, 0x3ee1c552, v3
	v_dual_fmac_f32 v15, 0x3ee1c552, v8 :: v_dual_add_f32 v12, v17, v7
	v_add_f32_e32 v17, v5, v6
	v_add_f32_e32 v6, v16, v2
	;; [unrolled: 1-line block ×4, first 2 shown]
	v_dual_add_f32 v3, v24, v12 :: v_dual_sub_f32 v4, v14, v15
	s_delay_alu instid0(VALU_DEP_3)
	v_sub_f32_e32 v7, v8, v13
	v_add_f32_e32 v9, v13, v8
	v_sub_f32_e32 v13, v12, v24
	v_dual_add_f32 v12, v20, v17 :: v_dual_add_f32 v5, v10, v11
	v_dual_sub_f32 v8, v2, v16 :: v_dual_sub_f32 v11, v11, v10
	v_add_f32_e32 v10, v15, v14
	v_sub_f32_e32 v2, v17, v20
	ds_store_2addr_b64 v26, v[0:1], v[12:13] offset1:34
	ds_store_2addr_b64 v26, v[10:11], v[8:9] offset0:68 offset1:102
	ds_store_2addr_b64 v26, v[6:7], v[4:5] offset0:136 offset1:170
	ds_store_b64 v26, v[2:3] offset:1632
.LBB0_23:
	s_wait_alu 0xfffe
	s_or_b32 exec_lo, exec_lo, s1
	v_mul_u32_u24_e32 v0, 5, v36
	global_wb scope:SCOPE_SE
	s_wait_dscnt 0x0
	s_barrier_signal -1
	s_barrier_wait -1
	global_inv scope:SCOPE_SE
	v_lshlrev_b32_e32 v16, 3, v0
	s_clause 0x5
	global_load_b128 v[0:3], v16, s[4:5] offset:1768
	global_load_b128 v[4:7], v16, s[4:5] offset:1784
	global_load_b64 v[44:45], v16, s[4:5] offset:1800
	global_load_b128 v[8:11], v16, s[4:5] offset:6528
	global_load_b128 v[12:15], v16, s[4:5] offset:6544
	global_load_b64 v[46:47], v16, s[4:5] offset:6560
	v_add_nc_u32_e32 v37, 0x400, v56
	v_add_nc_u32_e32 v48, 0xc00, v56
	;; [unrolled: 1-line block ×4, first 2 shown]
	ds_load_2addr_b64 v[16:19], v37 offset0:110 offset1:229
	ds_load_2addr_b64 v[20:23], v48 offset0:92 offset1:211
	s_wait_loadcnt_dscnt 0x501
	v_dual_mul_f32 v52, v1, v17 :: v_dual_add_nc_u32 v51, 0x2400, v56
	s_wait_loadcnt 0x2
	v_mul_f32_e32 v58, v19, v9
	ds_load_2addr_b64 v[24:27], v49 offset0:74 offset1:193
	ds_load_2addr_b64 v[28:31], v50 offset0:56 offset1:175
	;; [unrolled: 1-line block ×3, first 2 shown]
	ds_load_2addr_b64 v[40:43], v56 offset1:119
	v_mul_f32_e32 v53, v1, v16
	s_wait_dscnt 0x4
	v_mul_f32_e32 v1, v3, v21
	v_fma_f32 v16, v0, v16, -v52
	global_wb scope:SCOPE_SE
	s_wait_loadcnt_dscnt 0x0
	s_barrier_signal -1
	s_barrier_wait -1
	global_inv scope:SCOPE_SE
	v_mul_f32_e32 v60, v27, v13
	v_mul_f32_e32 v54, v5, v25
	v_dual_mul_f32 v5, v5, v24 :: v_dual_mul_f32 v62, v35, v47
	v_mul_f32_e32 v55, v7, v29
	v_mul_f32_e32 v57, v45, v33
	v_fmac_f32_e32 v53, v0, v17
	v_fma_f32 v0, v2, v20, -v1
	v_mul_f32_e32 v3, v3, v20
	v_fma_f32 v1, v4, v24, -v54
	v_mul_f32_e32 v9, v18, v9
	v_fma_f32 v17, v18, v8, -v58
	s_delay_alu instid0(VALU_DEP_4)
	v_fmac_f32_e32 v3, v2, v21
	v_mul_f32_e32 v7, v7, v28
	v_fma_f32 v2, v6, v28, -v55
	v_fmac_f32_e32 v5, v4, v25
	v_fma_f32 v4, v44, v32, -v57
	v_mul_f32_e32 v59, v23, v11
	v_mul_f32_e32 v45, v45, v32
	s_delay_alu instid0(VALU_DEP_4) | instskip(SKIP_1) | instid1(VALU_DEP_4)
	v_dual_mul_f32 v11, v22, v11 :: v_dual_add_f32 v24, v53, v5
	v_dual_add_f32 v20, v41, v3 :: v_dual_fmac_f32 v7, v6, v29
	v_fma_f32 v6, v22, v10, -v59
	v_mul_f32_e32 v61, v31, v15
	v_mul_f32_e32 v15, v30, v15
	v_fmac_f32_e32 v11, v23, v10
	v_dual_mul_f32 v13, v26, v13 :: v_dual_add_f32 v18, v0, v2
	s_delay_alu instid0(VALU_DEP_4) | instskip(NEXT) | instid1(VALU_DEP_4)
	v_fma_f32 v10, v30, v14, -v61
	v_dual_fmac_f32 v15, v31, v14 :: v_dual_add_f32 v14, v40, v0
	v_sub_f32_e32 v0, v0, v2
	v_add_f32_e32 v25, v42, v6
	v_fmac_f32_e32 v45, v44, v33
	v_fmac_f32_e32 v9, v19, v8
	v_fma_f32 v8, v26, v12, -v60
	v_add_f32_e32 v22, v1, v4
	v_add_f32_e32 v26, v6, v10
	;; [unrolled: 1-line block ×3, first 2 shown]
	v_sub_f32_e32 v6, v6, v10
	v_add_f32_e32 v2, v14, v2
	v_fma_f32 v14, -0.5, v18, v40
	v_fmac_f32_e32 v13, v27, v12
	v_fma_f32 v12, v34, v46, -v62
	v_add_f32_e32 v10, v25, v10
	v_sub_f32_e32 v23, v5, v45
	v_add_f32_e32 v5, v5, v45
	v_add_f32_e32 v21, v16, v1
	v_add_f32_e32 v29, v17, v8
	v_add_f32_e32 v30, v8, v12
	v_sub_f32_e32 v8, v8, v12
	v_dual_sub_f32 v1, v1, v4 :: v_dual_fmac_f32 v16, -0.5, v22
	v_fmac_f32_e32 v53, -0.5, v5
	v_sub_f32_e32 v19, v3, v7
	v_add_f32_e32 v3, v3, v7
	s_delay_alu instid0(VALU_DEP_1)
	v_fma_f32 v18, -0.5, v3, v41
	v_dual_add_f32 v3, v21, v4 :: v_dual_add_f32 v4, v24, v45
	v_dual_mul_f32 v47, v34, v47 :: v_dual_add_f32 v32, v9, v13
	v_fmamk_f32 v21, v23, 0x3f5db3d7, v16
	v_fmac_f32_e32 v16, 0xbf5db3d7, v23
	v_add_f32_e32 v7, v20, v7
	s_delay_alu instid0(VALU_DEP_4) | instskip(SKIP_1) | instid1(VALU_DEP_2)
	v_fmac_f32_e32 v47, v35, v46
	v_fma_f32 v20, -0.5, v26, v42
	v_sub_f32_e32 v31, v13, v47
	v_add_f32_e32 v13, v13, v47
	s_delay_alu instid0(VALU_DEP_1) | instskip(NEXT) | instid1(VALU_DEP_1)
	v_fmac_f32_e32 v9, -0.5, v13
	v_fmamk_f32 v26, v8, 0xbf5db3d7, v9
	v_fmamk_f32 v22, v1, 0xbf5db3d7, v53
	;; [unrolled: 1-line block ×3, first 2 shown]
	v_fmac_f32_e32 v14, 0xbf5db3d7, v19
	v_fmamk_f32 v19, v0, 0xbf5db3d7, v18
	v_dual_fmac_f32 v18, 0x3f5db3d7, v0 :: v_dual_sub_f32 v27, v11, v15
	v_dual_fmac_f32 v9, 0x3f5db3d7, v8 :: v_dual_mul_f32 v8, 0x3f5db3d7, v22
	s_delay_alu instid0(VALU_DEP_2) | instskip(SKIP_1) | instid1(VALU_DEP_3)
	v_fmamk_f32 v23, v27, 0x3f5db3d7, v20
	v_fmac_f32_e32 v20, 0xbf5db3d7, v27
	v_dual_fmac_f32 v8, 0.5, v21 :: v_dual_fmac_f32 v17, -0.5, v30
	s_delay_alu instid0(VALU_DEP_4) | instskip(NEXT) | instid1(VALU_DEP_2)
	v_dual_mul_f32 v27, 0x3f5db3d7, v26 :: v_dual_mul_f32 v30, -0.5, v9
	v_fmamk_f32 v25, v31, 0x3f5db3d7, v17
	v_fmac_f32_e32 v17, 0xbf5db3d7, v31
	s_delay_alu instid0(VALU_DEP_2) | instskip(SKIP_2) | instid1(VALU_DEP_4)
	v_fmac_f32_e32 v27, 0.5, v25
	v_fmac_f32_e32 v53, 0x3f5db3d7, v1
	v_add_f32_e32 v11, v11, v15
	v_dual_add_f32 v1, v7, v4 :: v_dual_fmac_f32 v30, 0xbf5db3d7, v17
	s_delay_alu instid0(VALU_DEP_2) | instskip(SKIP_1) | instid1(VALU_DEP_2)
	v_fmac_f32_e32 v43, -0.5, v11
	v_dual_add_f32 v11, v29, v12 :: v_dual_add_f32 v12, v32, v47
	v_dual_mul_f32 v29, 0xbf5db3d7, v25 :: v_dual_fmamk_f32 v24, v6, 0xbf5db3d7, v43
	s_delay_alu instid0(VALU_DEP_2)
	v_dual_fmac_f32 v43, 0x3f5db3d7, v6 :: v_dual_sub_f32 v6, v10, v11
	v_add_f32_e32 v0, v2, v3
	v_dual_sub_f32 v2, v2, v3 :: v_dual_sub_f32 v3, v7, v4
	v_add_f32_e32 v4, v10, v11
	v_dual_mul_f32 v10, -0.5, v16 :: v_dual_add_f32 v15, v28, v15
	v_dual_mul_f32 v28, -0.5, v17 :: v_dual_fmac_f32 v29, 0.5, v26
	s_delay_alu instid0(VALU_DEP_2) | instskip(NEXT) | instid1(VALU_DEP_2)
	v_dual_fmac_f32 v10, 0x3f5db3d7, v53 :: v_dual_add_f32 v5, v15, v12
	v_dual_fmac_f32 v28, 0x3f5db3d7, v9 :: v_dual_sub_f32 v7, v15, v12
	v_mul_f32_e32 v12, -0.5, v53
	s_delay_alu instid0(VALU_DEP_4)
	v_sub_f32_e32 v17, v24, v29
	ds_store_2addr_b64 v56, v[0:1], v[4:5] offset1:119
	v_add_f32_e32 v4, v14, v10
	v_sub_f32_e32 v10, v14, v10
	v_dual_add_f32 v14, v20, v28 :: v_dual_mul_f32 v11, 0xbf5db3d7, v21
	v_fmac_f32_e32 v12, 0xbf5db3d7, v16
	v_add_f32_e32 v0, v13, v8
	v_dual_sub_f32 v8, v13, v8 :: v_dual_add_f32 v13, v24, v29
	s_delay_alu instid0(VALU_DEP_4) | instskip(NEXT) | instid1(VALU_DEP_4)
	v_fmac_f32_e32 v11, 0.5, v22
	v_add_f32_e32 v5, v18, v12
	s_delay_alu instid0(VALU_DEP_2)
	v_add_f32_e32 v1, v19, v11
	v_sub_f32_e32 v9, v19, v11
	v_sub_f32_e32 v11, v18, v12
	;; [unrolled: 1-line block ×3, first 2 shown]
	v_add_f32_e32 v12, v23, v27
	v_sub_f32_e32 v16, v23, v27
	v_add_f32_e32 v15, v43, v30
	v_sub_f32_e32 v19, v43, v30
	ds_store_2addr_b64 v49, v[2:3], v[6:7] offset0:74 offset1:193
	ds_store_2addr_b64 v37, v[0:1], v[12:13] offset0:110 offset1:229
	;; [unrolled: 1-line block ×5, first 2 shown]
	global_wb scope:SCOPE_SE
	s_wait_dscnt 0x0
	s_barrier_signal -1
	s_barrier_wait -1
	global_inv scope:SCOPE_SE
	s_and_saveexec_b32 s0, vcc_lo
	s_cbranch_execz .LBB0_25
; %bb.24:
	v_dual_mov_b32 v37, 0 :: v_dual_add_nc_u32 v6, 0x77, v36
	v_lshl_add_u32 v28, v36, 3, 0
	v_add_co_u32 v32, vcc_lo, s8, v38
	s_delay_alu instid0(VALU_DEP_3)
	v_lshlrev_b64_e32 v[4:5], 3, v[36:37]
	s_wait_alu 0xfffd
	v_add_co_ci_u32_e32 v33, vcc_lo, s9, v39, vcc_lo
	v_dual_mov_b32 v7, v37 :: v_dual_add_nc_u32 v8, 0xee, v36
	v_dual_mov_b32 v9, v37 :: v_dual_add_nc_u32 v14, 0x400, v28
	ds_load_2addr_b64 v[0:3], v28 offset1:119
	v_add_co_u32 v10, vcc_lo, v32, v4
	s_wait_alu 0xfffd
	v_add_co_ci_u32_e32 v11, vcc_lo, v33, v5, vcc_lo
	v_lshlrev_b64_e32 v[12:13], 3, v[6:7]
	ds_load_2addr_b64 v[4:7], v14 offset0:110 offset1:229
	v_dual_mov_b32 v15, v37 :: v_dual_add_nc_u32 v14, 0x165, v36
	v_lshlrev_b64_e32 v[8:9], 3, v[8:9]
	v_dual_mov_b32 v17, v37 :: v_dual_add_nc_u32 v16, 0x1dc, v36
	v_add_co_u32 v12, vcc_lo, v32, v12
	s_delay_alu instid0(VALU_DEP_4)
	v_lshlrev_b64_e32 v[14:15], 3, v[14:15]
	s_wait_alu 0xfffd
	v_add_co_ci_u32_e32 v13, vcc_lo, v33, v13, vcc_lo
	v_add_co_u32 v8, vcc_lo, v32, v8
	s_wait_alu 0xfffd
	v_add_co_ci_u32_e32 v9, vcc_lo, v33, v9, vcc_lo
	v_add_co_u32 v14, vcc_lo, v32, v14
	s_wait_alu 0xfffd
	v_add_co_ci_u32_e32 v15, vcc_lo, v33, v15, vcc_lo
	v_dual_mov_b32 v19, v37 :: v_dual_add_nc_u32 v20, 0xc00, v28
	v_add_nc_u32_e32 v18, 0x253, v36
	s_wait_dscnt 0x1
	s_clause 0x1
	global_store_b64 v[10:11], v[0:1], off
	global_store_b64 v[12:13], v[2:3], off
	s_wait_dscnt 0x0
	s_clause 0x1
	global_store_b64 v[8:9], v[4:5], off
	global_store_b64 v[14:15], v[6:7], off
	v_mov_b32_e32 v9, v37
	v_lshlrev_b64_e32 v[4:5], 3, v[16:17]
	v_dual_mov_b32 v11, v37 :: v_dual_add_nc_u32 v8, 0x2ca, v36
	v_lshlrev_b64_e32 v[6:7], 3, v[18:19]
	v_dual_mov_b32 v15, v37 :: v_dual_add_nc_u32 v10, 0x341, v36
	s_delay_alu instid0(VALU_DEP_4) | instskip(NEXT) | instid1(VALU_DEP_4)
	v_add_co_u32 v16, vcc_lo, v32, v4
	v_lshlrev_b64_e32 v[8:9], 3, v[8:9]
	s_wait_alu 0xfffd
	v_add_co_ci_u32_e32 v17, vcc_lo, v33, v5, vcc_lo
	v_add_co_u32 v18, vcc_lo, v32, v6
	s_wait_alu 0xfffd
	v_add_co_ci_u32_e32 v19, vcc_lo, v33, v7, vcc_lo
	ds_load_2addr_b64 v[0:3], v20 offset0:92 offset1:211
	v_dual_mov_b32 v13, v37 :: v_dual_add_nc_u32 v4, 0x1400, v28
	v_add_co_u32 v20, vcc_lo, v32, v8
	v_dual_mov_b32 v27, v37 :: v_dual_add_nc_u32 v12, 0x3b8, v36
	s_wait_alu 0xfffd
	v_add_co_ci_u32_e32 v21, vcc_lo, v33, v9, vcc_lo
	v_lshlrev_b64_e32 v[8:9], 3, v[10:11]
	v_add_nc_u32_e32 v14, 0x42f, v36
	v_lshlrev_b64_e32 v[12:13], 3, v[12:13]
	v_add_nc_u32_e32 v10, 0x1c00, v28
	ds_load_2addr_b64 v[4:7], v4 offset0:74 offset1:193
	v_add_nc_u32_e32 v26, 0x4a6, v36
	v_add_co_u32 v22, vcc_lo, v32, v8
	v_lshlrev_b64_e32 v[24:25], 3, v[14:15]
	v_add_nc_u32_e32 v14, 0x2400, v28
	s_wait_alu 0xfffd
	v_add_co_ci_u32_e32 v23, vcc_lo, v33, v9, vcc_lo
	ds_load_2addr_b64 v[8:11], v10 offset0:56 offset1:175
	v_add_co_u32 v28, vcc_lo, v32, v12
	s_wait_alu 0xfffd
	v_add_co_ci_u32_e32 v29, vcc_lo, v33, v13, vcc_lo
	ds_load_2addr_b64 v[12:15], v14 offset0:38 offset1:157
	v_add_nc_u32_e32 v36, 0x51d, v36
	v_lshlrev_b64_e32 v[26:27], 3, v[26:27]
	v_add_co_u32 v24, vcc_lo, v32, v24
	s_wait_alu 0xfffd
	v_add_co_ci_u32_e32 v25, vcc_lo, v33, v25, vcc_lo
	v_lshlrev_b64_e32 v[30:31], 3, v[36:37]
	s_delay_alu instid0(VALU_DEP_4) | instskip(SKIP_2) | instid1(VALU_DEP_3)
	v_add_co_u32 v26, vcc_lo, v32, v26
	s_wait_alu 0xfffd
	v_add_co_ci_u32_e32 v27, vcc_lo, v33, v27, vcc_lo
	v_add_co_u32 v30, vcc_lo, v32, v30
	s_wait_alu 0xfffd
	v_add_co_ci_u32_e32 v31, vcc_lo, v33, v31, vcc_lo
	s_wait_dscnt 0x3
	s_clause 0x1
	global_store_b64 v[16:17], v[0:1], off
	global_store_b64 v[18:19], v[2:3], off
	s_wait_dscnt 0x2
	s_clause 0x1
	global_store_b64 v[20:21], v[4:5], off
	global_store_b64 v[22:23], v[6:7], off
	;; [unrolled: 4-line block ×4, first 2 shown]
.LBB0_25:
	s_nop 0
	s_sendmsg sendmsg(MSG_DEALLOC_VGPRS)
	s_endpgm
	.section	.rodata,"a",@progbits
	.p2align	6, 0x0
	.amdhsa_kernel fft_rtc_fwd_len1428_factors_17_2_7_6_wgs_119_tpt_119_halfLds_sp_ip_CI_unitstride_sbrr_C2R_dirReg
		.amdhsa_group_segment_fixed_size 0
		.amdhsa_private_segment_fixed_size 0
		.amdhsa_kernarg_size 88
		.amdhsa_user_sgpr_count 2
		.amdhsa_user_sgpr_dispatch_ptr 0
		.amdhsa_user_sgpr_queue_ptr 0
		.amdhsa_user_sgpr_kernarg_segment_ptr 1
		.amdhsa_user_sgpr_dispatch_id 0
		.amdhsa_user_sgpr_private_segment_size 0
		.amdhsa_wavefront_size32 1
		.amdhsa_uses_dynamic_stack 0
		.amdhsa_enable_private_segment 0
		.amdhsa_system_sgpr_workgroup_id_x 1
		.amdhsa_system_sgpr_workgroup_id_y 0
		.amdhsa_system_sgpr_workgroup_id_z 0
		.amdhsa_system_sgpr_workgroup_info 0
		.amdhsa_system_vgpr_workitem_id 0
		.amdhsa_next_free_vgpr 149
		.amdhsa_next_free_sgpr 32
		.amdhsa_reserve_vcc 1
		.amdhsa_float_round_mode_32 0
		.amdhsa_float_round_mode_16_64 0
		.amdhsa_float_denorm_mode_32 3
		.amdhsa_float_denorm_mode_16_64 3
		.amdhsa_fp16_overflow 0
		.amdhsa_workgroup_processor_mode 1
		.amdhsa_memory_ordered 1
		.amdhsa_forward_progress 0
		.amdhsa_round_robin_scheduling 0
		.amdhsa_exception_fp_ieee_invalid_op 0
		.amdhsa_exception_fp_denorm_src 0
		.amdhsa_exception_fp_ieee_div_zero 0
		.amdhsa_exception_fp_ieee_overflow 0
		.amdhsa_exception_fp_ieee_underflow 0
		.amdhsa_exception_fp_ieee_inexact 0
		.amdhsa_exception_int_div_zero 0
	.end_amdhsa_kernel
	.text
.Lfunc_end0:
	.size	fft_rtc_fwd_len1428_factors_17_2_7_6_wgs_119_tpt_119_halfLds_sp_ip_CI_unitstride_sbrr_C2R_dirReg, .Lfunc_end0-fft_rtc_fwd_len1428_factors_17_2_7_6_wgs_119_tpt_119_halfLds_sp_ip_CI_unitstride_sbrr_C2R_dirReg
                                        ; -- End function
	.section	.AMDGPU.csdata,"",@progbits
; Kernel info:
; codeLenInByte = 12996
; NumSgprs: 34
; NumVgprs: 149
; ScratchSize: 0
; MemoryBound: 0
; FloatMode: 240
; IeeeMode: 1
; LDSByteSize: 0 bytes/workgroup (compile time only)
; SGPRBlocks: 4
; VGPRBlocks: 18
; NumSGPRsForWavesPerEU: 34
; NumVGPRsForWavesPerEU: 149
; Occupancy: 9
; WaveLimiterHint : 1
; COMPUTE_PGM_RSRC2:SCRATCH_EN: 0
; COMPUTE_PGM_RSRC2:USER_SGPR: 2
; COMPUTE_PGM_RSRC2:TRAP_HANDLER: 0
; COMPUTE_PGM_RSRC2:TGID_X_EN: 1
; COMPUTE_PGM_RSRC2:TGID_Y_EN: 0
; COMPUTE_PGM_RSRC2:TGID_Z_EN: 0
; COMPUTE_PGM_RSRC2:TIDIG_COMP_CNT: 0
	.text
	.p2alignl 7, 3214868480
	.fill 96, 4, 3214868480
	.type	__hip_cuid_ca9f441299803ef8,@object ; @__hip_cuid_ca9f441299803ef8
	.section	.bss,"aw",@nobits
	.globl	__hip_cuid_ca9f441299803ef8
__hip_cuid_ca9f441299803ef8:
	.byte	0                               ; 0x0
	.size	__hip_cuid_ca9f441299803ef8, 1

	.ident	"AMD clang version 19.0.0git (https://github.com/RadeonOpenCompute/llvm-project roc-6.4.0 25133 c7fe45cf4b819c5991fe208aaa96edf142730f1d)"
	.section	".note.GNU-stack","",@progbits
	.addrsig
	.addrsig_sym __hip_cuid_ca9f441299803ef8
	.amdgpu_metadata
---
amdhsa.kernels:
  - .args:
      - .actual_access:  read_only
        .address_space:  global
        .offset:         0
        .size:           8
        .value_kind:     global_buffer
      - .offset:         8
        .size:           8
        .value_kind:     by_value
      - .actual_access:  read_only
        .address_space:  global
        .offset:         16
        .size:           8
        .value_kind:     global_buffer
      - .actual_access:  read_only
        .address_space:  global
        .offset:         24
        .size:           8
        .value_kind:     global_buffer
      - .offset:         32
        .size:           8
        .value_kind:     by_value
      - .actual_access:  read_only
        .address_space:  global
        .offset:         40
        .size:           8
        .value_kind:     global_buffer
      - .actual_access:  read_only
        .address_space:  global
        .offset:         48
        .size:           8
        .value_kind:     global_buffer
      - .offset:         56
        .size:           4
        .value_kind:     by_value
      - .actual_access:  read_only
        .address_space:  global
        .offset:         64
        .size:           8
        .value_kind:     global_buffer
      - .actual_access:  read_only
        .address_space:  global
        .offset:         72
        .size:           8
        .value_kind:     global_buffer
      - .address_space:  global
        .offset:         80
        .size:           8
        .value_kind:     global_buffer
    .group_segment_fixed_size: 0
    .kernarg_segment_align: 8
    .kernarg_segment_size: 88
    .language:       OpenCL C
    .language_version:
      - 2
      - 0
    .max_flat_workgroup_size: 119
    .name:           fft_rtc_fwd_len1428_factors_17_2_7_6_wgs_119_tpt_119_halfLds_sp_ip_CI_unitstride_sbrr_C2R_dirReg
    .private_segment_fixed_size: 0
    .sgpr_count:     34
    .sgpr_spill_count: 0
    .symbol:         fft_rtc_fwd_len1428_factors_17_2_7_6_wgs_119_tpt_119_halfLds_sp_ip_CI_unitstride_sbrr_C2R_dirReg.kd
    .uniform_work_group_size: 1
    .uses_dynamic_stack: false
    .vgpr_count:     149
    .vgpr_spill_count: 0
    .wavefront_size: 32
    .workgroup_processor_mode: 1
amdhsa.target:   amdgcn-amd-amdhsa--gfx1201
amdhsa.version:
  - 1
  - 2
...

	.end_amdgpu_metadata
